;; amdgpu-corpus repo=ROCm/rocFFT kind=compiled arch=gfx1030 opt=O3
	.text
	.amdgcn_target "amdgcn-amd-amdhsa--gfx1030"
	.amdhsa_code_object_version 6
	.protected	fft_rtc_back_len3600_factors_10_10_6_6_wgs_120_tpt_120_halfLds_dp_ip_CI_unitstride_sbrr_R2C_dirReg ; -- Begin function fft_rtc_back_len3600_factors_10_10_6_6_wgs_120_tpt_120_halfLds_dp_ip_CI_unitstride_sbrr_R2C_dirReg
	.globl	fft_rtc_back_len3600_factors_10_10_6_6_wgs_120_tpt_120_halfLds_dp_ip_CI_unitstride_sbrr_R2C_dirReg
	.p2align	8
	.type	fft_rtc_back_len3600_factors_10_10_6_6_wgs_120_tpt_120_halfLds_dp_ip_CI_unitstride_sbrr_R2C_dirReg,@function
fft_rtc_back_len3600_factors_10_10_6_6_wgs_120_tpt_120_halfLds_dp_ip_CI_unitstride_sbrr_R2C_dirReg: ; @fft_rtc_back_len3600_factors_10_10_6_6_wgs_120_tpt_120_halfLds_dp_ip_CI_unitstride_sbrr_R2C_dirReg
; %bb.0:
	s_clause 0x2
	s_load_dwordx4 s[8:11], s[4:5], 0x0
	s_load_dwordx2 s[2:3], s[4:5], 0x50
	s_load_dwordx2 s[12:13], s[4:5], 0x18
	v_mul_u32_u24_e32 v1, 0x223, v0
	v_mov_b32_e32 v3, 0
	v_add_nc_u32_sdwa v5, s6, v1 dst_sel:DWORD dst_unused:UNUSED_PAD src0_sel:DWORD src1_sel:WORD_1
	v_mov_b32_e32 v1, 0
	v_mov_b32_e32 v6, v3
	v_mov_b32_e32 v2, 0
	s_waitcnt lgkmcnt(0)
	v_cmp_lt_u64_e64 s0, s[10:11], 2
	s_and_b32 vcc_lo, exec_lo, s0
	s_cbranch_vccnz .LBB0_8
; %bb.1:
	s_load_dwordx2 s[0:1], s[4:5], 0x10
	v_mov_b32_e32 v1, 0
	s_add_u32 s6, s12, 8
	v_mov_b32_e32 v2, 0
	s_addc_u32 s7, s13, 0
	s_mov_b64 s[16:17], 1
	s_waitcnt lgkmcnt(0)
	s_add_u32 s14, s0, 8
	s_addc_u32 s15, s1, 0
.LBB0_2:                                ; =>This Inner Loop Header: Depth=1
	s_load_dwordx2 s[18:19], s[14:15], 0x0
                                        ; implicit-def: $vgpr7_vgpr8
	s_mov_b32 s0, exec_lo
	s_waitcnt lgkmcnt(0)
	v_or_b32_e32 v4, s19, v6
	v_cmpx_ne_u64_e32 0, v[3:4]
	s_xor_b32 s1, exec_lo, s0
	s_cbranch_execz .LBB0_4
; %bb.3:                                ;   in Loop: Header=BB0_2 Depth=1
	v_cvt_f32_u32_e32 v4, s18
	v_cvt_f32_u32_e32 v7, s19
	s_sub_u32 s0, 0, s18
	s_subb_u32 s20, 0, s19
	v_fmac_f32_e32 v4, 0x4f800000, v7
	v_rcp_f32_e32 v4, v4
	v_mul_f32_e32 v4, 0x5f7ffffc, v4
	v_mul_f32_e32 v7, 0x2f800000, v4
	v_trunc_f32_e32 v7, v7
	v_fmac_f32_e32 v4, 0xcf800000, v7
	v_cvt_u32_f32_e32 v7, v7
	v_cvt_u32_f32_e32 v4, v4
	v_mul_lo_u32 v8, s0, v7
	v_mul_hi_u32 v9, s0, v4
	v_mul_lo_u32 v10, s20, v4
	v_add_nc_u32_e32 v8, v9, v8
	v_mul_lo_u32 v9, s0, v4
	v_add_nc_u32_e32 v8, v8, v10
	v_mul_hi_u32 v10, v4, v9
	v_mul_lo_u32 v11, v4, v8
	v_mul_hi_u32 v12, v4, v8
	v_mul_hi_u32 v13, v7, v9
	v_mul_lo_u32 v9, v7, v9
	v_mul_hi_u32 v14, v7, v8
	v_mul_lo_u32 v8, v7, v8
	v_add_co_u32 v10, vcc_lo, v10, v11
	v_add_co_ci_u32_e32 v11, vcc_lo, 0, v12, vcc_lo
	v_add_co_u32 v9, vcc_lo, v10, v9
	v_add_co_ci_u32_e32 v9, vcc_lo, v11, v13, vcc_lo
	v_add_co_ci_u32_e32 v10, vcc_lo, 0, v14, vcc_lo
	v_add_co_u32 v8, vcc_lo, v9, v8
	v_add_co_ci_u32_e32 v9, vcc_lo, 0, v10, vcc_lo
	v_add_co_u32 v4, vcc_lo, v4, v8
	v_add_co_ci_u32_e32 v7, vcc_lo, v7, v9, vcc_lo
	v_mul_hi_u32 v8, s0, v4
	v_mul_lo_u32 v10, s20, v4
	v_mul_lo_u32 v9, s0, v7
	v_add_nc_u32_e32 v8, v8, v9
	v_mul_lo_u32 v9, s0, v4
	v_add_nc_u32_e32 v8, v8, v10
	v_mul_hi_u32 v10, v4, v9
	v_mul_lo_u32 v11, v4, v8
	v_mul_hi_u32 v12, v4, v8
	v_mul_hi_u32 v13, v7, v9
	v_mul_lo_u32 v9, v7, v9
	v_mul_hi_u32 v14, v7, v8
	v_mul_lo_u32 v8, v7, v8
	v_add_co_u32 v10, vcc_lo, v10, v11
	v_add_co_ci_u32_e32 v11, vcc_lo, 0, v12, vcc_lo
	v_add_co_u32 v9, vcc_lo, v10, v9
	v_add_co_ci_u32_e32 v9, vcc_lo, v11, v13, vcc_lo
	v_add_co_ci_u32_e32 v10, vcc_lo, 0, v14, vcc_lo
	v_add_co_u32 v8, vcc_lo, v9, v8
	v_add_co_ci_u32_e32 v9, vcc_lo, 0, v10, vcc_lo
	v_add_co_u32 v4, vcc_lo, v4, v8
	v_add_co_ci_u32_e32 v11, vcc_lo, v7, v9, vcc_lo
	v_mul_hi_u32 v13, v5, v4
	v_mad_u64_u32 v[9:10], null, v6, v4, 0
	v_mad_u64_u32 v[7:8], null, v5, v11, 0
	;; [unrolled: 1-line block ×3, first 2 shown]
	v_add_co_u32 v4, vcc_lo, v13, v7
	v_add_co_ci_u32_e32 v7, vcc_lo, 0, v8, vcc_lo
	v_add_co_u32 v4, vcc_lo, v4, v9
	v_add_co_ci_u32_e32 v4, vcc_lo, v7, v10, vcc_lo
	v_add_co_ci_u32_e32 v7, vcc_lo, 0, v12, vcc_lo
	v_add_co_u32 v4, vcc_lo, v4, v11
	v_add_co_ci_u32_e32 v9, vcc_lo, 0, v7, vcc_lo
	v_mul_lo_u32 v10, s19, v4
	v_mad_u64_u32 v[7:8], null, s18, v4, 0
	v_mul_lo_u32 v11, s18, v9
	v_sub_co_u32 v7, vcc_lo, v5, v7
	v_add3_u32 v8, v8, v11, v10
	v_sub_nc_u32_e32 v10, v6, v8
	v_subrev_co_ci_u32_e64 v10, s0, s19, v10, vcc_lo
	v_add_co_u32 v11, s0, v4, 2
	v_add_co_ci_u32_e64 v12, s0, 0, v9, s0
	v_sub_co_u32 v13, s0, v7, s18
	v_sub_co_ci_u32_e32 v8, vcc_lo, v6, v8, vcc_lo
	v_subrev_co_ci_u32_e64 v10, s0, 0, v10, s0
	v_cmp_le_u32_e32 vcc_lo, s18, v13
	v_cmp_eq_u32_e64 s0, s19, v8
	v_cndmask_b32_e64 v13, 0, -1, vcc_lo
	v_cmp_le_u32_e32 vcc_lo, s19, v10
	v_cndmask_b32_e64 v14, 0, -1, vcc_lo
	v_cmp_le_u32_e32 vcc_lo, s18, v7
	;; [unrolled: 2-line block ×3, first 2 shown]
	v_cndmask_b32_e64 v15, 0, -1, vcc_lo
	v_cmp_eq_u32_e32 vcc_lo, s19, v10
	v_cndmask_b32_e64 v7, v15, v7, s0
	v_cndmask_b32_e32 v10, v14, v13, vcc_lo
	v_add_co_u32 v13, vcc_lo, v4, 1
	v_add_co_ci_u32_e32 v14, vcc_lo, 0, v9, vcc_lo
	v_cmp_ne_u32_e32 vcc_lo, 0, v10
	v_cndmask_b32_e32 v8, v14, v12, vcc_lo
	v_cndmask_b32_e32 v10, v13, v11, vcc_lo
	v_cmp_ne_u32_e32 vcc_lo, 0, v7
	v_cndmask_b32_e32 v8, v9, v8, vcc_lo
	v_cndmask_b32_e32 v7, v4, v10, vcc_lo
.LBB0_4:                                ;   in Loop: Header=BB0_2 Depth=1
	s_andn2_saveexec_b32 s0, s1
	s_cbranch_execz .LBB0_6
; %bb.5:                                ;   in Loop: Header=BB0_2 Depth=1
	v_cvt_f32_u32_e32 v4, s18
	s_sub_i32 s1, 0, s18
	v_rcp_iflag_f32_e32 v4, v4
	v_mul_f32_e32 v4, 0x4f7ffffe, v4
	v_cvt_u32_f32_e32 v4, v4
	v_mul_lo_u32 v7, s1, v4
	v_mul_hi_u32 v7, v4, v7
	v_add_nc_u32_e32 v4, v4, v7
	v_mul_hi_u32 v4, v5, v4
	v_mul_lo_u32 v7, v4, s18
	v_add_nc_u32_e32 v8, 1, v4
	v_sub_nc_u32_e32 v7, v5, v7
	v_subrev_nc_u32_e32 v9, s18, v7
	v_cmp_le_u32_e32 vcc_lo, s18, v7
	v_cndmask_b32_e32 v7, v7, v9, vcc_lo
	v_cndmask_b32_e32 v4, v4, v8, vcc_lo
	v_cmp_le_u32_e32 vcc_lo, s18, v7
	v_add_nc_u32_e32 v8, 1, v4
	v_cndmask_b32_e32 v7, v4, v8, vcc_lo
	v_mov_b32_e32 v8, v3
.LBB0_6:                                ;   in Loop: Header=BB0_2 Depth=1
	s_or_b32 exec_lo, exec_lo, s0
	s_load_dwordx2 s[0:1], s[6:7], 0x0
	v_mul_lo_u32 v4, v8, s18
	v_mul_lo_u32 v11, v7, s19
	v_mad_u64_u32 v[9:10], null, v7, s18, 0
	s_add_u32 s16, s16, 1
	s_addc_u32 s17, s17, 0
	s_add_u32 s6, s6, 8
	s_addc_u32 s7, s7, 0
	;; [unrolled: 2-line block ×3, first 2 shown]
	v_add3_u32 v4, v10, v11, v4
	v_sub_co_u32 v5, vcc_lo, v5, v9
	v_sub_co_ci_u32_e32 v4, vcc_lo, v6, v4, vcc_lo
	s_waitcnt lgkmcnt(0)
	v_mul_lo_u32 v6, s1, v5
	v_mul_lo_u32 v4, s0, v4
	v_mad_u64_u32 v[1:2], null, s0, v5, v[1:2]
	v_cmp_ge_u64_e64 s0, s[16:17], s[10:11]
	s_and_b32 vcc_lo, exec_lo, s0
	v_add3_u32 v2, v6, v2, v4
	s_cbranch_vccnz .LBB0_9
; %bb.7:                                ;   in Loop: Header=BB0_2 Depth=1
	v_mov_b32_e32 v5, v7
	v_mov_b32_e32 v6, v8
	s_branch .LBB0_2
.LBB0_8:
	v_mov_b32_e32 v8, v6
	v_mov_b32_e32 v7, v5
.LBB0_9:
	s_lshl_b64 s[0:1], s[10:11], 3
	v_mul_hi_u32 v3, 0x2222223, v0
	s_add_u32 s0, s12, s0
	s_addc_u32 s1, s13, s1
	s_load_dwordx2 s[4:5], s[4:5], 0x20
	s_load_dwordx2 s[0:1], s[0:1], 0x0
	v_mul_u32_u24_e32 v3, 0x78, v3
	v_sub_nc_u32_e32 v88, v0, v3
	v_add_nc_u32_e32 v90, 0x78, v88
	v_add_nc_u32_e32 v98, 0xf0, v88
	;; [unrolled: 1-line block ×4, first 2 shown]
	s_waitcnt lgkmcnt(0)
	v_cmp_gt_u64_e32 vcc_lo, s[4:5], v[7:8]
	v_mul_lo_u32 v3, s0, v8
	v_mul_lo_u32 v4, s1, v7
	v_mad_u64_u32 v[0:1], null, s0, v7, v[1:2]
	v_cmp_le_u64_e64 s0, s[4:5], v[7:8]
	v_add3_u32 v1, v4, v1, v3
	s_and_saveexec_b32 s1, s0
	s_xor_b32 s0, exec_lo, s1
; %bb.10:
	v_add_nc_u32_e32 v90, 0x78, v88
	v_add_nc_u32_e32 v98, 0xf0, v88
	;; [unrolled: 1-line block ×4, first 2 shown]
; %bb.11:
	s_or_saveexec_b32 s1, s0
	v_lshlrev_b64 v[94:95], 4, v[0:1]
	v_or_b32_e32 v92, 0x780, v88
	s_xor_b32 exec_lo, exec_lo, s1
	s_cbranch_execz .LBB0_13
; %bb.12:
	v_mov_b32_e32 v89, 0
	v_add_co_u32 v62, s0, s2, v94
	v_add_co_ci_u32_e64 v63, s0, s3, v95, s0
	v_lshlrev_b64 v[0:1], 4, v[88:89]
	v_mov_b32_e32 v93, v89
	v_lshl_add_u32 v89, v88, 4, 0
	v_lshlrev_b64 v[56:57], 4, v[92:93]
	v_add_co_u32 v64, s0, v62, v0
	v_add_co_ci_u32_e64 v65, s0, v63, v1, s0
	v_add_co_u32 v8, s0, 0x800, v64
	v_add_co_ci_u32_e64 v9, s0, 0, v65, s0
	;; [unrolled: 2-line block ×29, first 2 shown]
	s_clause 0x1d
	global_load_dwordx4 v[0:3], v[64:65], off
	global_load_dwordx4 v[4:7], v[64:65], off offset:1920
	global_load_dwordx4 v[8:11], v[8:9], off offset:1792
	;; [unrolled: 1-line block ×15, first 2 shown]
	global_load_dwordx4 v[64:67], v[66:67], off
	global_load_dwordx4 v[68:71], v[68:69], off offset:1920
	global_load_dwordx4 v[72:75], v[72:73], off offset:1792
	global_load_dwordx4 v[76:79], v[76:77], off offset:1664
	global_load_dwordx4 v[80:83], v[80:81], off offset:1536
	global_load_dwordx4 v[84:87], v[84:85], off offset:1408
	global_load_dwordx4 v[99:102], v[99:100], off offset:1280
	global_load_dwordx4 v[103:106], v[103:104], off offset:1152
	global_load_dwordx4 v[107:110], v[107:108], off offset:1024
	global_load_dwordx4 v[111:114], v[111:112], off offset:896
	global_load_dwordx4 v[115:118], v[115:116], off offset:768
	global_load_dwordx4 v[119:122], v[119:120], off offset:640
	global_load_dwordx4 v[123:126], v[123:124], off offset:512
	global_load_dwordx4 v[127:130], v[127:128], off offset:384
	s_waitcnt vmcnt(29)
	ds_write_b128 v89, v[0:3]
	s_waitcnt vmcnt(28)
	ds_write_b128 v89, v[4:7] offset:1920
	s_waitcnt vmcnt(27)
	ds_write_b128 v89, v[8:11] offset:3840
	s_waitcnt vmcnt(26)
	ds_write_b128 v89, v[12:15] offset:5760
	s_waitcnt vmcnt(25)
	ds_write_b128 v89, v[16:19] offset:7680
	s_waitcnt vmcnt(24)
	ds_write_b128 v89, v[20:23] offset:9600
	s_waitcnt vmcnt(23)
	ds_write_b128 v89, v[24:27] offset:11520
	s_waitcnt vmcnt(22)
	ds_write_b128 v89, v[28:31] offset:13440
	s_waitcnt vmcnt(21)
	ds_write_b128 v89, v[32:35] offset:15360
	s_waitcnt vmcnt(20)
	ds_write_b128 v89, v[36:39] offset:17280
	s_waitcnt vmcnt(19)
	ds_write_b128 v89, v[40:43] offset:19200
	s_waitcnt vmcnt(18)
	ds_write_b128 v89, v[44:47] offset:21120
	s_waitcnt vmcnt(17)
	ds_write_b128 v89, v[48:51] offset:23040
	s_waitcnt vmcnt(16)
	ds_write_b128 v89, v[52:55] offset:24960
	s_waitcnt vmcnt(15)
	ds_write_b128 v89, v[56:59] offset:26880
	s_waitcnt vmcnt(14)
	ds_write_b128 v89, v[60:63] offset:28800
	s_waitcnt vmcnt(13)
	ds_write_b128 v89, v[64:67] offset:30720
	s_waitcnt vmcnt(12)
	ds_write_b128 v89, v[68:71] offset:32640
	s_waitcnt vmcnt(11)
	ds_write_b128 v89, v[72:75] offset:34560
	s_waitcnt vmcnt(10)
	ds_write_b128 v89, v[76:79] offset:36480
	s_waitcnt vmcnt(9)
	ds_write_b128 v89, v[80:83] offset:38400
	s_waitcnt vmcnt(8)
	ds_write_b128 v89, v[84:87] offset:40320
	s_waitcnt vmcnt(7)
	ds_write_b128 v89, v[99:102] offset:42240
	s_waitcnt vmcnt(6)
	ds_write_b128 v89, v[103:106] offset:44160
	s_waitcnt vmcnt(5)
	ds_write_b128 v89, v[107:110] offset:46080
	s_waitcnt vmcnt(4)
	ds_write_b128 v89, v[111:114] offset:48000
	s_waitcnt vmcnt(3)
	ds_write_b128 v89, v[115:118] offset:49920
	s_waitcnt vmcnt(2)
	ds_write_b128 v89, v[119:122] offset:51840
	s_waitcnt vmcnt(1)
	ds_write_b128 v89, v[123:126] offset:53760
	s_waitcnt vmcnt(0)
	ds_write_b128 v89, v[127:130] offset:55680
.LBB0_13:
	s_or_b32 exec_lo, exec_lo, s1
	v_lshlrev_b32_e32 v89, 4, v88
	s_waitcnt lgkmcnt(0)
	s_barrier
	buffer_gl0_inv
	s_mov_b32 s12, 0x134454ff
	v_add_nc_u32_e32 v147, 0, v89
	s_mov_b32 s13, 0xbfee6f0e
	s_mov_b32 s7, 0x3fee6f0e
	;; [unrolled: 1-line block ×4, first 2 shown]
	ds_read_b128 v[48:51], v147 offset:28800
	ds_read_b128 v[44:47], v147 offset:40320
	;; [unrolled: 1-line block ×10, first 2 shown]
	ds_read_b128 v[72:75], v147
	ds_read_b128 v[68:71], v147 offset:23040
	ds_read_b128 v[64:67], v147 offset:34560
	;; [unrolled: 1-line block ×12, first 2 shown]
	s_mov_b32 s11, 0xbfe2cf23
	s_mov_b32 s5, 0x3fe2cf23
	;; [unrolled: 1-line block ×7, first 2 shown]
	s_waitcnt lgkmcnt(12)
	v_add_f64 v[117:118], v[72:73], v[76:77]
	v_add_f64 v[119:120], v[74:75], v[78:79]
	s_waitcnt lgkmcnt(10)
	v_add_f64 v[121:122], v[68:69], v[64:65]
	v_add_f64 v[129:130], v[70:71], v[66:67]
	v_add_f64 v[123:124], v[70:71], -v[66:67]
	v_add_f64 v[125:126], v[76:77], -v[68:69]
	;; [unrolled: 1-line block ×3, first 2 shown]
	s_waitcnt lgkmcnt(5)
	v_add_f64 v[133:134], v[76:77], v[60:61]
	v_add_f64 v[82:83], v[50:51], v[46:47]
	;; [unrolled: 1-line block ×4, first 2 shown]
	v_add_f64 v[86:87], v[54:55], -v[42:43]
	v_add_f64 v[111:112], v[52:53], -v[40:41]
	;; [unrolled: 1-line block ×3, first 2 shown]
	v_add_f64 v[115:116], v[52:53], v[40:41]
	v_add_f64 v[137:138], v[78:79], v[62:63]
	v_add_f64 v[139:140], v[52:53], -v[48:49]
	v_add_f64 v[141:142], v[54:55], -v[50:51]
	;; [unrolled: 1-line block ×7, first 2 shown]
	v_add_f64 v[54:55], v[58:59], v[54:55]
	v_add_f64 v[131:132], v[68:69], -v[64:65]
	v_add_f64 v[135:136], v[78:79], -v[70:71]
	;; [unrolled: 1-line block ×6, first 2 shown]
	v_fma_f64 v[82:83], v[82:83], -0.5, v[58:59]
	v_fma_f64 v[80:81], v[80:81], -0.5, v[56:57]
	v_fma_f64 v[84:85], v[84:85], -0.5, v[58:59]
	v_add_f64 v[76:77], v[76:77], -v[60:61]
	v_fma_f64 v[121:122], v[121:122], -0.5, v[72:73]
	v_fma_f64 v[72:73], v[133:134], -0.5, v[72:73]
	v_fma_f64 v[115:116], v[115:116], -0.5, v[56:57]
	v_add_f64 v[56:57], v[56:57], v[52:53]
	v_add_f64 v[52:53], v[48:49], -v[52:53]
	v_fma_f64 v[129:130], v[129:130], -0.5, v[74:75]
	v_fma_f64 v[74:75], v[137:138], -0.5, v[74:75]
	v_add_f64 v[133:134], v[139:140], v[145:146]
	v_add_f64 v[137:138], v[141:142], v[148:149]
	v_add_f64 v[139:140], v[143:144], v[150:151]
	v_add_f64 v[68:69], v[117:118], v[68:69]
	v_add_f64 v[70:71], v[119:120], v[70:71]
	v_add_f64 v[50:51], v[54:55], v[50:51]
	v_add_f64 v[150:151], v[64:65], -v[60:61]
	s_mov_b32 s14, 0x9b97f4a8
	s_mov_b32 s15, 0x3fe9e377
	;; [unrolled: 1-line block ×4, first 2 shown]
	v_fma_f64 v[154:155], v[111:112], s[6:7], v[82:83]
	v_fma_f64 v[156:157], v[86:87], s[12:13], v[80:81]
	v_fma_f64 v[158:159], v[113:114], s[12:13], v[84:85]
	v_fma_f64 v[58:59], v[113:114], s[6:7], v[84:85]
	v_add_f64 v[84:85], v[60:61], -v[64:65]
	v_fma_f64 v[82:83], v[111:112], s[12:13], v[82:83]
	v_fma_f64 v[141:142], v[152:153], s[6:7], v[115:116]
	;; [unrolled: 1-line block ×3, first 2 shown]
	v_add_f64 v[48:49], v[56:57], v[48:49]
	v_add_f64 v[52:53], v[52:53], v[164:165]
	v_fma_f64 v[54:55], v[86:87], s[6:7], v[80:81]
	v_fma_f64 v[80:81], v[78:79], s[12:13], v[121:122]
	;; [unrolled: 1-line block ×6, first 2 shown]
	v_add_f64 v[64:65], v[68:69], v[64:65]
	v_fma_f64 v[68:69], v[78:79], s[6:7], v[121:122]
	v_fma_f64 v[121:122], v[76:77], s[12:13], v[129:130]
	v_add_f64 v[50:51], v[50:51], v[46:47]
	v_add_f64 v[127:128], v[127:128], v[150:151]
	s_waitcnt lgkmcnt(0)
	v_add_f64 v[166:167], v[107:108], -v[103:104]
	v_fma_f64 v[143:144], v[113:114], s[4:5], v[154:155]
	v_fma_f64 v[145:146], v[152:153], s[10:11], v[156:157]
	;; [unrolled: 1-line block ×4, first 2 shown]
	v_add_f64 v[154:155], v[66:67], -v[62:63]
	v_add_f64 v[56:57], v[125:126], v[84:85]
	v_add_f64 v[84:85], v[135:136], v[162:163]
	v_fma_f64 v[111:112], v[76:77], s[6:7], v[129:130]
	v_fma_f64 v[82:83], v[113:114], s[10:11], v[82:83]
	v_fma_f64 v[113:114], v[86:87], s[10:11], v[141:142]
	v_fma_f64 v[86:87], v[86:87], s[4:5], v[115:116]
	v_add_f64 v[66:67], v[70:71], v[66:67]
	v_add_f64 v[48:49], v[48:49], v[44:45]
	v_fma_f64 v[54:55], v[152:153], s[4:5], v[54:55]
	v_fma_f64 v[70:71], v[123:124], s[10:11], v[80:81]
	;; [unrolled: 1-line block ×4, first 2 shown]
	ds_read_b128 v[44:47], v147 offset:30720
	v_add_f64 v[156:157], v[101:102], -v[109:110]
	v_add_f64 v[170:171], v[32:33], v[24:25]
	v_add_f64 v[172:173], v[34:35], v[26:27]
	v_add_f64 v[176:177], v[105:106], -v[109:110]
	v_fma_f64 v[125:126], v[137:138], s[0:1], v[143:144]
	v_fma_f64 v[135:136], v[133:134], s[0:1], v[145:146]
	;; [unrolled: 1-line block ×4, first 2 shown]
	v_add_f64 v[115:116], v[160:161], v[154:155]
	v_add_f64 v[148:149], v[101:102], v[109:110]
	;; [unrolled: 1-line block ×3, first 2 shown]
	v_fma_f64 v[80:81], v[131:132], s[4:5], v[111:112]
	v_fma_f64 v[111:112], v[78:79], s[10:11], v[117:118]
	;; [unrolled: 1-line block ×6, first 2 shown]
	v_add_f64 v[86:87], v[64:65], v[60:61]
	v_fma_f64 v[64:65], v[123:124], s[4:5], v[68:69]
	v_fma_f64 v[68:69], v[131:132], s[10:11], v[121:122]
	v_add_f64 v[121:122], v[66:67], v[62:63]
	v_add_f64 v[123:124], v[48:49], v[40:41]
	;; [unrolled: 1-line block ×3, first 2 shown]
	v_fma_f64 v[48:49], v[133:134], s[0:1], v[54:55]
	v_fma_f64 v[133:134], v[56:57], s[0:1], v[70:71]
	s_waitcnt lgkmcnt(0)
	v_add_f64 v[139:140], v[44:45], v[103:104]
	v_mul_f64 v[113:114], v[125:126], s[10:11]
	v_mul_f64 v[119:120], v[135:136], s[4:5]
	;; [unrolled: 1-line block ×6, first 2 shown]
	v_add_f64 v[141:142], v[36:37], v[28:29]
	v_fma_f64 v[80:81], v[84:85], s[0:1], v[80:81]
	v_fma_f64 v[111:112], v[127:128], s[0:1], v[111:112]
	;; [unrolled: 1-line block ×3, first 2 shown]
	v_mul_f64 v[50:51], v[78:79], s[10:11]
	v_mul_f64 v[70:71], v[78:79], s[18:19]
	v_fma_f64 v[127:128], v[127:128], s[0:1], v[72:73]
	v_add_f64 v[158:159], v[44:45], -v[103:104]
	v_add_f64 v[160:161], v[99:100], v[107:108]
	v_fma_f64 v[145:146], v[56:57], s[0:1], v[64:65]
	v_fma_f64 v[150:151], v[84:85], s[0:1], v[68:69]
	v_add_f64 v[68:69], v[86:87], -v[123:124]
	v_add_f64 v[162:163], v[99:100], -v[44:45]
	;; [unrolled: 1-line block ×3, first 2 shown]
	v_add_f64 v[180:181], v[28:29], v[20:21]
	v_add_f64 v[182:183], v[30:31], v[22:23]
	v_fma_f64 v[78:79], v[135:136], s[14:15], v[113:114]
	v_fma_f64 v[113:114], v[125:126], s[14:15], v[119:120]
	;; [unrolled: 1-line block ×4, first 2 shown]
	v_add_f64 v[115:116], v[46:47], v[105:106]
	v_fma_f64 v[125:126], v[82:83], s[6:7], v[137:138]
	v_fma_f64 v[135:136], v[52:53], s[16:17], v[76:77]
	;; [unrolled: 1-line block ×3, first 2 shown]
	ds_read_b128 v[60:63], v147 offset:32640
	ds_read_b128 v[52:55], v147 offset:44160
	;; [unrolled: 1-line block ×3, first 2 shown]
	v_fma_f64 v[152:153], v[48:49], s[18:19], v[50:51]
	v_fma_f64 v[154:155], v[48:49], s[4:5], v[70:71]
	v_add_f64 v[50:51], v[121:122], v[131:132]
	v_add_f64 v[70:71], v[121:122], -v[131:132]
	v_add_f64 v[131:132], v[99:100], -v[107:108]
	v_add_f64 v[48:49], v[86:87], v[123:124]
	v_add_f64 v[184:185], v[28:29], -v[20:21]
	v_fma_f64 v[170:171], v[170:171], -0.5, v[36:37]
	v_add_f64 v[162:163], v[162:163], v[166:167]
	v_fma_f64 v[172:173], v[172:173], -0.5, v[38:39]
	v_add_f64 v[174:175], v[174:175], v[176:177]
	;; [unrolled: 2-line block ×3, first 2 shown]
	v_add_f64 v[76:77], v[133:134], -v[78:79]
	v_add_f64 v[74:75], v[80:81], v[113:114]
	v_add_f64 v[78:79], v[80:81], -v[113:114]
	v_add_f64 v[84:85], v[111:112], v[119:120]
	v_add_f64 v[86:87], v[117:118], v[125:126]
	v_add_f64 v[111:112], v[111:112], -v[119:120]
	s_waitcnt lgkmcnt(0)
	v_fma_f64 v[133:134], v[115:116], -0.5, v[42:43]
	v_fma_f64 v[139:140], v[139:140], -0.5, v[40:41]
	;; [unrolled: 1-line block ×3, first 2 shown]
	v_add_f64 v[113:114], v[117:118], -v[125:126]
	v_add_f64 v[115:116], v[127:128], v[135:136]
	v_add_f64 v[117:118], v[129:130], v[137:138]
	v_add_f64 v[119:120], v[127:128], -v[135:136]
	v_add_f64 v[121:122], v[129:130], -v[137:138]
	v_add_f64 v[135:136], v[141:142], v[32:33]
	v_add_f64 v[137:138], v[143:144], v[34:35]
	v_add_f64 v[141:142], v[46:47], -v[105:106]
	v_add_f64 v[129:130], v[101:102], -v[46:47]
	;; [unrolled: 1-line block ×3, first 2 shown]
	v_fma_f64 v[160:161], v[160:161], -0.5, v[40:41]
	v_add_f64 v[123:124], v[145:146], v[152:153]
	v_add_f64 v[127:128], v[145:146], -v[152:153]
	v_add_f64 v[40:41], v[40:41], v[99:100]
	v_add_f64 v[42:43], v[42:43], v[101:102]
	v_add_f64 v[101:102], v[34:35], -v[26:27]
	v_add_f64 v[145:146], v[32:33], -v[24:25]
	;; [unrolled: 1-line block ×4, first 2 shown]
	v_fma_f64 v[164:165], v[131:132], s[6:7], v[133:134]
	v_fma_f64 v[168:169], v[156:157], s[12:13], v[139:140]
	;; [unrolled: 1-line block ×4, first 2 shown]
	v_fma_f64 v[38:39], v[182:183], -0.5, v[38:39]
	v_add_f64 v[125:126], v[150:151], v[154:155]
	v_fma_f64 v[182:183], v[184:185], s[6:7], v[172:173]
	v_mul_u32_u24_e32 v91, 10, v88
	ds_read_b128 v[64:67], v147 offset:21120
	ds_read_b128 v[56:59], v147 offset:55680
	;; [unrolled: 1-line block ×3, first 2 shown]
	s_waitcnt lgkmcnt(0)
	s_barrier
	v_add_f64 v[143:144], v[129:130], v[143:144]
	v_fma_f64 v[176:177], v[141:142], s[6:7], v[160:161]
	v_add_f64 v[129:130], v[150:151], -v[154:155]
	v_add_f64 v[150:151], v[28:29], -v[32:33]
	v_fma_f64 v[154:155], v[141:142], s[12:13], v[160:161]
	v_add_f64 v[28:29], v[32:33], -v[28:29]
	v_add_f64 v[32:33], v[30:31], -v[34:35]
	;; [unrolled: 1-line block ×3, first 2 shown]
	v_add_f64 v[34:35], v[40:41], v[44:45]
	v_add_f64 v[40:41], v[42:43], v[46:47]
	v_fma_f64 v[164:165], v[158:159], s[4:5], v[164:165]
	v_fma_f64 v[166:167], v[141:142], s[10:11], v[168:169]
	v_add_f64 v[168:169], v[103:104], -v[107:108]
	v_fma_f64 v[178:179], v[131:132], s[4:5], v[178:179]
	v_fma_f64 v[148:149], v[131:132], s[10:11], v[148:149]
	v_add_f64 v[42:43], v[20:21], -v[24:25]
	v_add_f64 v[44:45], v[24:25], -v[20:21]
	;; [unrolled: 1-line block ×3, first 2 shown]
	v_fma_f64 v[180:181], v[152:153], s[12:13], v[170:171]
	v_add_f64 v[24:25], v[135:136], v[24:25]
	v_fma_f64 v[135:136], v[145:146], s[4:5], v[182:183]
	v_lshl_add_u32 v91, v91, 4, 0
	buffer_gl0_inv
	ds_write_b128 v91, v[48:51]
	ds_write_b128 v91, v[72:75] offset:16
	ds_write_b128 v91, v[84:87] offset:32
	ds_write_b128 v91, v[115:118] offset:48
	v_fma_f64 v[154:155], v[156:157], s[4:5], v[154:155]
	ds_write_b128 v91, v[123:126] offset:64
	ds_write_b128 v91, v[68:71] offset:80
	ds_write_b128 v91, v[76:79] offset:96
	ds_write_b128 v91, v[111:114] offset:112
	ds_write_b128 v91, v[119:122] offset:128
	ds_write_b128 v91, v[127:130] offset:144
	v_add_f64 v[34:35], v[34:35], v[103:104]
	v_add_f64 v[40:41], v[40:41], v[105:106]
	v_fma_f64 v[46:47], v[143:144], s[0:1], v[164:165]
	v_fma_f64 v[164:165], v[162:163], s[0:1], v[166:167]
	v_add_f64 v[166:167], v[26:27], -v[22:23]
	v_add_f64 v[99:100], v[99:100], v[168:169]
	v_fma_f64 v[168:169], v[156:157], s[10:11], v[176:177]
	v_fma_f64 v[176:177], v[174:175], s[0:1], v[178:179]
	;; [unrolled: 1-line block ×7, first 2 shown]
	v_add_f64 v[26:27], v[137:138], v[26:27]
	v_add_f64 v[103:104], v[150:151], v[42:43]
	;; [unrolled: 1-line block ×4, first 2 shown]
	v_fma_f64 v[44:45], v[101:102], s[10:11], v[180:181]
	v_add_f64 v[20:21], v[24:25], v[20:21]
	v_add_f64 v[76:77], v[62:63], v[54:55]
	;; [unrolled: 1-line block ×3, first 2 shown]
	v_add_f64 v[111:112], v[66:67], -v[58:59]
	v_add_f64 v[24:25], v[34:35], v[107:108]
	v_add_f64 v[113:114], v[64:65], -v[56:57]
	v_mul_f64 v[42:43], v[46:47], s[10:11]
	v_mul_f64 v[32:33], v[164:165], s[4:5]
	v_add_f64 v[30:31], v[30:31], v[166:167]
	v_add_f64 v[70:71], v[14:15], v[10:11]
	v_fma_f64 v[137:138], v[99:100], s[0:1], v[168:169]
	v_mul_f64 v[150:151], v[176:177], s[12:13]
	v_mul_f64 v[160:161], v[176:177], s[0:1]
	v_fma_f64 v[166:167], v[152:153], s[10:11], v[178:179]
	v_fma_f64 v[168:169], v[184:185], s[4:5], v[174:175]
	;; [unrolled: 1-line block ×4, first 2 shown]
	v_add_f64 v[22:23], v[26:27], v[22:23]
	v_add_f64 v[26:27], v[40:41], v[109:110]
	v_fma_f64 v[99:100], v[99:100], s[0:1], v[154:155]
	v_mul_f64 v[154:155], v[148:149], s[12:13]
	v_fma_f64 v[44:45], v[103:104], s[0:1], v[44:45]
	v_mul_f64 v[148:149], v[148:149], s[16:17]
	v_fma_f64 v[76:77], v[76:77], -0.5, v[82:83]
	v_fma_f64 v[78:79], v[78:79], -0.5, v[80:81]
	v_fma_f64 v[117:118], v[156:157], s[6:7], v[139:140]
	v_add_f64 v[119:120], v[64:65], v[56:57]
	v_add_f64 v[121:122], v[60:61], -v[52:53]
	v_fma_f64 v[40:41], v[164:165], s[14:15], v[42:43]
	v_fma_f64 v[42:43], v[46:47], s[14:15], v[32:33]
	v_fma_f64 v[46:47], v[105:106], s[0:1], v[135:136]
	v_add_f64 v[109:110], v[18:19], v[2:3]
	v_add_f64 v[123:124], v[80:81], v[64:65]
	v_fma_f64 v[48:49], v[137:138], s[0:1], v[150:151]
	v_fma_f64 v[50:51], v[137:138], s[6:7], v[160:161]
	;; [unrolled: 1-line block ×6, first 2 shown]
	v_add_f64 v[28:29], v[20:21], v[24:25]
	v_add_f64 v[30:31], v[22:23], v[26:27]
	v_add_f64 v[20:21], v[20:21], -v[24:25]
	v_add_f64 v[22:23], v[22:23], -v[26:27]
	v_fma_f64 v[107:108], v[99:100], s[16:17], v[154:155]
	v_fma_f64 v[99:100], v[99:100], s[6:7], v[148:149]
	;; [unrolled: 1-line block ×3, first 2 shown]
	v_add_f64 v[135:136], v[66:67], -v[62:63]
	v_add_f64 v[137:138], v[56:57], -v[52:53]
	;; [unrolled: 1-line block ×4, first 2 shown]
	v_add_f64 v[32:33], v[44:45], v[40:41]
	v_add_f64 v[24:25], v[44:45], -v[40:41]
	v_add_f64 v[34:35], v[46:47], v[42:43]
	v_add_f64 v[26:27], v[46:47], -v[42:43]
	v_fma_f64 v[150:151], v[113:114], s[6:7], v[76:77]
	v_fma_f64 v[152:153], v[111:112], s[12:13], v[78:79]
	v_add_f64 v[68:69], v[12:13], v[8:9]
	v_add_f64 v[44:45], v[72:73], v[48:49]
	;; [unrolled: 1-line block ×3, first 2 shown]
	v_add_f64 v[36:37], v[72:73], -v[48:49]
	v_add_f64 v[38:39], v[74:75], -v[50:51]
	v_add_f64 v[72:73], v[66:67], v[58:59]
	v_fma_f64 v[74:75], v[131:132], s[12:13], v[133:134]
	v_add_f64 v[133:134], v[64:65], -v[60:61]
	v_add_f64 v[70:71], v[70:71], v[18:19]
	v_add_f64 v[48:49], v[84:85], v[107:108]
	;; [unrolled: 1-line block ×3, first 2 shown]
	v_add_f64 v[40:41], v[84:85], -v[107:108]
	v_add_f64 v[42:43], v[86:87], -v[99:100]
	v_add_f64 v[84:85], v[16:17], v[0:1]
	v_add_f64 v[86:87], v[18:19], -v[2:3]
	v_add_f64 v[115:116], v[10:11], -v[18:19]
	;; [unrolled: 1-line block ×4, first 2 shown]
	v_add_f64 v[129:130], v[8:9], v[4:5]
	v_fma_f64 v[131:132], v[184:185], s[12:13], v[172:173]
	v_add_f64 v[10:11], v[10:11], v[6:7]
	v_fma_f64 v[117:118], v[141:142], s[4:5], v[117:118]
	v_add_f64 v[141:142], v[54:55], -v[58:59]
	v_fma_f64 v[80:81], v[119:120], -0.5, v[80:81]
	v_fma_f64 v[76:77], v[113:114], s[12:13], v[76:77]
	v_add_f64 v[99:100], v[8:9], -v[16:17]
	v_add_f64 v[107:108], v[16:17], -v[8:9]
	v_fma_f64 v[72:73], v[72:73], -0.5, v[82:83]
	v_fma_f64 v[74:75], v[158:159], s[10:11], v[74:75]
	v_add_f64 v[82:83], v[82:83], v[66:67]
	v_add_f64 v[66:67], v[62:63], -v[66:67]
	v_add_f64 v[8:9], v[8:9], -v[4:5]
	;; [unrolled: 1-line block ×3, first 2 shown]
	v_add_f64 v[60:61], v[123:124], v[60:61]
	v_fma_f64 v[109:110], v[109:110], -0.5, v[14:15]
	v_add_f64 v[68:69], v[68:69], v[16:17]
	v_add_f64 v[16:17], v[16:17], -v[0:1]
	v_add_f64 v[123:124], v[4:5], -v[0:1]
	v_fma_f64 v[84:85], v[84:85], -0.5, v[12:13]
	v_fma_f64 v[78:79], v[111:112], s[6:7], v[78:79]
	v_fma_f64 v[12:13], v[129:130], -0.5, v[12:13]
	v_add_f64 v[70:71], v[70:71], v[2:3]
	v_fma_f64 v[10:11], v[10:11], -0.5, v[14:15]
	v_fma_f64 v[117:118], v[162:163], s[0:1], v[117:118]
	v_fma_f64 v[14:15], v[139:140], s[12:13], v[80:81]
	;; [unrolled: 1-line block ×6, first 2 shown]
	v_add_f64 v[62:63], v[82:83], v[62:63]
	v_fma_f64 v[82:83], v[101:102], s[4:5], v[125:126]
	v_add_f64 v[125:126], v[133:134], v[137:138]
	v_add_f64 v[133:134], v[135:136], v[148:149]
	v_fma_f64 v[135:136], v[121:122], s[4:5], v[150:151]
	v_fma_f64 v[137:138], v[139:140], s[10:11], v[152:153]
	v_fma_f64 v[101:102], v[145:146], s[10:11], v[131:132]
	v_add_f64 v[131:132], v[52:53], -v[56:57]
	v_add_f64 v[66:67], v[66:67], v[141:142]
	v_fma_f64 v[141:142], v[139:140], s[6:7], v[80:81]
	v_add_f64 v[80:81], v[6:7], -v[2:3]
	v_add_f64 v[52:53], v[60:61], v[52:53]
	v_add_f64 v[68:69], v[68:69], v[0:1]
	v_add_f64 v[0:1], v[0:1], -v[4:5]
	v_fma_f64 v[129:130], v[86:87], s[6:7], v[12:13]
	v_fma_f64 v[14:15], v[111:112], s[4:5], v[14:15]
	;; [unrolled: 1-line block ×3, first 2 shown]
	v_add_f64 v[2:3], v[2:3], -v[6:7]
	v_fma_f64 v[12:13], v[86:87], s[12:13], v[12:13]
	v_fma_f64 v[119:120], v[113:114], s[4:5], v[119:120]
	v_mul_f64 v[143:144], v[74:75], s[10:11]
	v_fma_f64 v[72:73], v[113:114], s[10:11], v[72:73]
	v_mul_f64 v[74:75], v[74:75], s[18:19]
	v_add_f64 v[54:55], v[62:63], v[54:55]
	v_fma_f64 v[60:61], v[103:104], s[0:1], v[82:83]
	v_fma_f64 v[113:114], v[8:9], s[6:7], v[109:110]
	;; [unrolled: 1-line block ×6, first 2 shown]
	v_add_f64 v[64:65], v[64:65], v[131:132]
	v_fma_f64 v[105:106], v[111:112], s[10:11], v[141:142]
	v_fma_f64 v[131:132], v[16:17], s[12:13], v[10:11]
	;; [unrolled: 1-line block ×4, first 2 shown]
	v_add_f64 v[80:81], v[115:116], v[80:81]
	v_add_f64 v[107:108], v[107:108], v[0:1]
	v_fma_f64 v[115:116], v[127:128], s[10:11], v[129:130]
	v_add_f64 v[70:71], v[70:71], v[6:7]
	v_add_f64 v[2:3], v[18:19], v[2:3]
	v_fma_f64 v[12:13], v[127:128], s[4:5], v[12:13]
	v_fma_f64 v[119:120], v[66:67], s[0:1], v[119:120]
	;; [unrolled: 1-line block ×6, first 2 shown]
	v_add_f64 v[84:85], v[99:100], v[123:124]
	v_fma_f64 v[99:100], v[8:9], s[12:13], v[109:110]
	v_mul_f64 v[109:110], v[62:63], s[10:11]
	v_mul_f64 v[111:112], v[82:83], s[4:5]
	v_fma_f64 v[113:114], v[16:17], s[4:5], v[113:114]
	v_fma_f64 v[103:104], v[86:87], s[10:11], v[103:104]
	;; [unrolled: 1-line block ×6, first 2 shown]
	v_add_f64 v[52:53], v[52:53], v[56:57]
	v_add_f64 v[54:55], v[54:55], v[58:59]
	;; [unrolled: 1-line block ×3, first 2 shown]
	v_and_b32_e32 v150, 0xff, v90
	v_lshl_add_u32 v149, v97, 4, 0
	v_mul_f64 v[18:19], v[119:120], s[12:13]
	v_mul_f64 v[105:106], v[119:120], s[0:1]
	;; [unrolled: 1-line block ×4, first 2 shown]
	v_fma_f64 v[66:67], v[86:87], s[4:5], v[74:75]
	v_fma_f64 v[74:75], v[125:126], s[0:1], v[78:79]
	v_mul_f64 v[78:79], v[76:77], s[10:11]
	v_fma_f64 v[16:17], v[16:17], s[10:11], v[99:100]
	v_mul_f64 v[76:77], v[76:77], s[18:19]
	v_fma_f64 v[56:57], v[82:83], s[14:15], v[109:110]
	v_fma_f64 v[58:59], v[62:63], s[14:15], v[111:112]
	v_fma_f64 v[82:83], v[80:81], s[0:1], v[113:114]
	v_fma_f64 v[62:63], v[84:85], s[0:1], v[103:104]
	v_fma_f64 v[103:104], v[107:108], s[0:1], v[115:116]
	v_fma_f64 v[107:108], v[107:108], s[0:1], v[12:13]
	v_fma_f64 v[111:112], v[2:3], s[0:1], v[8:9]
	v_add_f64 v[4:5], v[60:61], -v[121:122]
	v_add_f64 v[6:7], v[101:102], -v[72:73]
	v_add_f64 v[8:9], v[68:69], v[52:53]
	v_add_f64 v[12:13], v[68:69], -v[52:53]
	v_fma_f64 v[86:87], v[0:1], s[0:1], v[18:19]
	v_fma_f64 v[99:100], v[0:1], s[6:7], v[105:106]
	v_fma_f64 v[105:106], v[2:3], s[0:1], v[117:118]
	v_add_f64 v[0:1], v[60:61], v[121:122]
	v_fma_f64 v[84:85], v[84:85], s[0:1], v[66:67]
	v_fma_f64 v[109:110], v[14:15], s[16:17], v[64:65]
	;; [unrolled: 1-line block ×6, first 2 shown]
	v_add_f64 v[2:3], v[101:102], v[72:73]
	v_mul_i32_i24_e32 v74, 10, v90
	v_add_f64 v[10:11], v[70:71], v[54:55]
	v_add_f64 v[14:15], v[70:71], -v[54:55]
	v_add_f64 v[18:19], v[82:83], v[58:59]
	v_add_f64 v[54:55], v[82:83], -v[58:59]
	v_lshl_add_u32 v93, v74, 4, 0
	v_and_b32_e32 v82, 0xff, v88
	v_add_f64 v[16:17], v[62:63], v[56:57]
	v_add_f64 v[52:53], v[62:63], -v[56:57]
	ds_write_b128 v93, v[28:31]
	v_mul_lo_u16 v28, 0xcd, v82
	v_add_f64 v[56:57], v[103:104], v[86:87]
	v_add_f64 v[58:59], v[105:106], v[99:100]
	v_add_f64 v[60:61], v[103:104], -v[86:87]
	v_add_f64 v[62:63], v[105:106], -v[99:100]
	v_lshrrev_b16 v155, 11, v28
	v_add_f64 v[72:73], v[84:85], v[78:79]
	v_add_f64 v[76:77], v[84:85], -v[78:79]
	v_add_f64 v[78:79], v[80:81], -v[115:116]
	v_add_f64 v[64:65], v[107:108], v[109:110]
	v_add_f64 v[66:67], v[111:112], v[113:114]
	ds_write_b128 v93, v[32:35] offset:16
	ds_write_b128 v93, v[44:47] offset:32
	;; [unrolled: 1-line block ×6, first 2 shown]
	v_mul_lo_u16 v0, v155, 10
	v_add_f64 v[68:69], v[107:108], -v[109:110]
	v_add_f64 v[70:71], v[111:112], -v[113:114]
	v_add_f64 v[74:75], v[80:81], v[115:116]
	v_mov_b32_e32 v44, 9
	v_sub_nc_u16 v156, v88, v0
	v_mul_i32_i24_e32 v29, 10, v98
	v_mul_u32_u24_sdwa v0, v156, v44 dst_sel:DWORD dst_unused:UNUSED_PAD src0_sel:BYTE_0 src1_sel:DWORD
	v_lshl_add_u32 v148, v29, 4, 0
	ds_write_b128 v93, v[36:39] offset:112
	ds_write_b128 v93, v[40:43] offset:128
	;; [unrolled: 1-line block ×3, first 2 shown]
	ds_write_b128 v148, v[8:11]
	ds_write_b128 v148, v[16:19] offset:16
	ds_write_b128 v148, v[56:59] offset:32
	;; [unrolled: 1-line block ×4, first 2 shown]
	v_lshlrev_b32_e32 v4, 4, v0
	ds_write_b128 v148, v[12:15] offset:80
	ds_write_b128 v148, v[52:55] offset:96
	;; [unrolled: 1-line block ×5, first 2 shown]
	s_waitcnt lgkmcnt(0)
	s_barrier
	buffer_gl0_inv
	s_clause 0x6
	global_load_dwordx4 v[84:87], v4, s[8:9]
	global_load_dwordx4 v[72:75], v4, s[8:9] offset:16
	global_load_dwordx4 v[80:83], v4, s[8:9] offset:32
	;; [unrolled: 1-line block ×6, first 2 shown]
	v_mul_lo_u16 v5, 0xcd, v150
	global_load_dwordx4 v[0:3], v4, s[8:9] offset:112
	v_mov_b32_e32 v37, 0xcccd
	v_lshrrev_b16 v154, 11, v5
	global_load_dwordx4 v[4:7], v4, s[8:9] offset:128
	v_mul_u32_u24_sdwa v37, v98, v37 dst_sel:DWORD dst_unused:UNUSED_PAD src0_sel:WORD_0 src1_sel:DWORD
	v_mul_lo_u16 v8, v154, 10
	v_lshrrev_b32_e32 v152, 19, v37
	v_sub_nc_u16 v151, v90, v8
	v_mul_lo_u16 v37, v152, 10
	v_mul_u32_u24_sdwa v8, v151, v44 dst_sel:DWORD dst_unused:UNUSED_PAD src0_sel:BYTE_0 src1_sel:DWORD
	v_sub_nc_u16 v153, v98, v37
	v_lshlrev_b32_e32 v36, 4, v8
	s_clause 0x8
	global_load_dwordx4 v[8:11], v36, s[8:9]
	global_load_dwordx4 v[12:15], v36, s[8:9] offset:16
	global_load_dwordx4 v[20:23], v36, s[8:9] offset:32
	;; [unrolled: 1-line block ×8, first 2 shown]
	v_mul_u32_u24_sdwa v44, v153, v44 dst_sel:DWORD dst_unused:UNUSED_PAD src0_sel:WORD_0 src1_sel:DWORD
	v_lshlrev_b32_e32 v91, 4, v44
	s_clause 0x6
	global_load_dwordx4 v[44:47], v91, s[8:9]
	global_load_dwordx4 v[56:59], v91, s[8:9] offset:16
	global_load_dwordx4 v[52:55], v91, s[8:9] offset:32
	global_load_dwordx4 v[48:51], v91, s[8:9] offset:48
	global_load_dwordx4 v[60:63], v91, s[8:9] offset:64
	global_load_dwordx4 v[64:67], v91, s[8:9] offset:80
	global_load_dwordx4 v[68:71], v91, s[8:9] offset:96
	ds_read_b128 v[111:114], v149
	ds_read_b128 v[115:118], v147 offset:11520
	ds_read_b128 v[119:122], v147 offset:17280
	;; [unrolled: 1-line block ×11, first 2 shown]
	s_waitcnt vmcnt(24) lgkmcnt(11)
	v_mul_f64 v[123:124], v[113:114], v[86:87]
	s_waitcnt vmcnt(23) lgkmcnt(10)
	v_mul_f64 v[125:126], v[117:118], v[74:75]
	v_mul_f64 v[74:75], v[115:116], v[74:75]
	s_waitcnt vmcnt(22) lgkmcnt(9)
	v_mul_f64 v[127:128], v[121:122], v[82:83]
	v_mul_f64 v[82:83], v[119:120], v[82:83]
	v_mul_f64 v[86:87], v[111:112], v[86:87]
	s_waitcnt vmcnt(21) lgkmcnt(8)
	v_mul_f64 v[139:140], v[137:138], v[78:79]
	v_mul_f64 v[78:79], v[135:136], v[78:79]
	v_fma_f64 v[145:146], v[111:112], v[84:85], v[123:124]
	v_fma_f64 v[125:126], v[115:116], v[72:73], v[125:126]
	v_fma_f64 v[131:132], v[117:118], v[72:73], -v[74:75]
	global_load_dwordx4 v[72:75], v91, s[8:9] offset:112
	v_fma_f64 v[141:142], v[121:122], v[80:81], -v[82:83]
	s_waitcnt vmcnt(20) lgkmcnt(2)
	v_mul_f64 v[121:122], v[179:180], v[105:106]
	v_mul_f64 v[105:106], v[177:178], v[105:106]
	v_fma_f64 v[133:134], v[119:120], v[80:81], v[127:128]
	v_mul_f64 v[119:120], v[171:172], v[101:102]
	v_mul_f64 v[101:102], v[169:170], v[101:102]
	v_fma_f64 v[129:130], v[113:114], v[84:85], -v[86:87]
	ds_read_b128 v[111:114], v147 offset:46080
	v_fma_f64 v[127:128], v[135:136], v[76:77], v[139:140]
	v_fma_f64 v[137:138], v[137:138], v[76:77], -v[78:79]
	s_waitcnt vmcnt(19) lgkmcnt(2)
	v_mul_f64 v[76:77], v[183:184], v[109:110]
	v_mul_f64 v[78:79], v[181:182], v[109:110]
	ds_read_b128 v[115:118], v147 offset:51840
	ds_read_b128 v[80:83], v147 offset:30720
	;; [unrolled: 1-line block ×3, first 2 shown]
	v_fma_f64 v[135:136], v[177:178], v[103:104], v[121:122]
	v_fma_f64 v[143:144], v[179:180], v[103:104], -v[105:106]
	global_load_dwordx4 v[177:180], v91, s[8:9] offset:128
	v_fma_f64 v[193:194], v[169:170], v[99:100], v[119:120]
	v_fma_f64 v[139:140], v[171:172], v[99:100], -v[101:102]
	ds_read_b128 v[169:172], v147 offset:48000
	s_waitcnt vmcnt(19) lgkmcnt(4)
	v_mul_f64 v[103:104], v[113:114], v[2:3]
	ds_read_b128 v[99:102], v147 offset:7680
	v_mul_f64 v[105:106], v[111:112], v[2:3]
	v_fma_f64 v[195:196], v[181:182], v[107:108], v[76:77]
	v_fma_f64 v[2:3], v[183:184], v[107:108], -v[78:79]
	ds_read_b128 v[181:184], v147
	ds_read_b128 v[76:79], v147 offset:49920
	s_waitcnt vmcnt(18) lgkmcnt(6)
	v_mul_f64 v[107:108], v[117:118], v[6:7]
	v_mul_f64 v[6:7], v[115:116], v[6:7]
	v_mad_i32_i24 v91, 0xffffff70, v90, v93
	v_fma_f64 v[197:198], v[111:112], v[0:1], v[103:104]
	s_waitcnt vmcnt(17) lgkmcnt(2)
	v_mul_f64 v[103:104], v[101:102], v[10:11]
	v_mul_f64 v[10:11], v[99:100], v[10:11]
	v_fma_f64 v[0:1], v[113:114], v[0:1], -v[105:106]
	v_fma_f64 v[199:200], v[115:116], v[4:5], v[107:108]
	v_fma_f64 v[201:202], v[117:118], v[4:5], -v[6:7]
	ds_read_b128 v[4:7], v147 offset:13440
	ds_read_b128 v[189:192], v147 offset:15360
	v_fma_f64 v[119:120], v[99:100], v[8:9], v[103:104]
	v_fma_f64 v[121:122], v[101:102], v[8:9], -v[10:11]
	s_waitcnt vmcnt(16) lgkmcnt(1)
	v_mul_f64 v[105:106], v[6:7], v[14:15]
	v_mul_f64 v[8:9], v[4:5], v[14:15]
	s_waitcnt vmcnt(15)
	v_mul_f64 v[14:15], v[167:168], v[22:23]
	v_mul_f64 v[22:23], v[165:166], v[22:23]
	v_fma_f64 v[103:104], v[4:5], v[12:13], v[105:106]
	v_fma_f64 v[101:102], v[6:7], v[12:13], -v[8:9]
	ds_read_b128 v[4:7], v147 offset:24960
	ds_read_b128 v[8:11], v147 offset:26880
	v_fma_f64 v[117:118], v[165:166], v[20:21], v[14:15]
	v_fma_f64 v[123:124], v[167:168], v[20:21], -v[22:23]
	s_waitcnt vmcnt(13)
	v_mul_f64 v[20:21], v[80:81], v[26:27]
	s_waitcnt vmcnt(12)
	v_mul_f64 v[22:23], v[84:85], v[34:35]
	v_add_f64 v[165:166], v[199:200], -v[195:196]
	s_waitcnt lgkmcnt(1)
	v_mul_f64 v[12:13], v[6:7], v[18:19]
	v_mul_f64 v[14:15], v[4:5], v[18:19]
	v_mul_f64 v[18:19], v[82:83], v[26:27]
	s_waitcnt vmcnt(10)
	v_mul_f64 v[26:27], v[169:170], v[42:43]
	v_fma_f64 v[115:116], v[82:83], v[24:25], -v[20:21]
	v_fma_f64 v[105:106], v[86:87], v[32:33], -v[22:23]
	v_mul_f64 v[22:23], v[171:172], v[42:43]
	v_add_f64 v[42:43], v[193:194], v[195:196]
	v_fma_f64 v[111:112], v[4:5], v[16:17], v[12:13]
	v_fma_f64 v[107:108], v[6:7], v[16:17], -v[14:15]
	ds_read_b128 v[4:7], v147 offset:42240
	ds_read_b128 v[12:15], v147 offset:44160
	v_mul_f64 v[16:17], v[86:87], v[34:35]
	v_fma_f64 v[113:114], v[80:81], v[24:25], v[18:19]
	v_fma_f64 v[82:83], v[171:172], v[40:41], -v[26:27]
	s_waitcnt vmcnt(8)
	v_mul_f64 v[26:27], v[161:162], v[46:47]
	v_fma_f64 v[80:81], v[169:170], v[40:41], v[22:23]
	v_mul_f64 v[22:23], v[163:164], v[46:47]
	s_waitcnt vmcnt(4)
	v_mul_f64 v[34:35], v[159:160], v[62:63]
	v_fma_f64 v[42:43], v[42:43], -0.5, v[145:146]
	v_add_f64 v[169:170], v[139:140], -v[2:3]
	v_add_f64 v[171:172], v[0:1], -v[143:144]
	s_waitcnt lgkmcnt(1)
	v_mul_f64 v[20:21], v[6:7], v[30:31]
	v_mul_f64 v[24:25], v[4:5], v[30:31]
	;; [unrolled: 1-line block ×3, first 2 shown]
	v_fma_f64 v[109:110], v[84:85], v[32:33], v[16:17]
	ds_read_b128 v[16:19], v147 offset:53760
	v_fma_f64 v[40:41], v[161:162], v[44:45], v[22:23]
	v_fma_f64 v[34:35], v[157:158], v[60:61], v[34:35]
	;; [unrolled: 1-line block ×3, first 2 shown]
	v_fma_f64 v[99:100], v[6:7], v[28:29], -v[24:25]
	ds_read_b128 v[4:7], v147 offset:55680
	s_waitcnt lgkmcnt(1)
	v_mul_f64 v[24:25], v[16:17], v[38:39]
	v_mul_f64 v[20:21], v[18:19], v[38:39]
	;; [unrolled: 1-line block ×3, first 2 shown]
	v_add_f64 v[38:39], v[139:140], v[2:3]
	v_fma_f64 v[22:23], v[191:192], v[56:57], -v[30:31]
	s_waitcnt vmcnt(3)
	v_mul_f64 v[30:31], v[185:186], v[66:67]
	v_fma_f64 v[84:85], v[18:19], v[36:37], -v[24:25]
	v_mul_f64 v[24:25], v[10:11], v[50:51]
	v_fma_f64 v[58:59], v[16:17], v[36:37], v[20:21]
	v_mul_f64 v[16:17], v[175:176], v[54:55]
	v_mul_f64 v[18:19], v[173:174], v[54:55]
	v_fma_f64 v[54:55], v[163:164], v[44:45], -v[26:27]
	v_mul_f64 v[26:27], v[8:9], v[50:51]
	v_mul_f64 v[36:37], v[157:158], v[62:63]
	v_fma_f64 v[20:21], v[189:190], v[56:57], v[28:29]
	v_mul_f64 v[28:29], v[187:188], v[66:67]
	s_waitcnt vmcnt(2)
	v_mul_f64 v[44:45], v[14:15], v[70:71]
	v_mul_f64 v[50:51], v[12:13], v[70:71]
	v_fma_f64 v[30:31], v[187:188], v[64:65], -v[30:31]
	v_add_f64 v[66:67], v[133:134], v[199:200]
	v_add_f64 v[56:57], v[137:138], v[143:144]
	;; [unrolled: 1-line block ×5, first 2 shown]
	v_add_f64 v[163:164], v[133:134], -v[193:194]
	v_fma_f64 v[24:25], v[8:9], v[48:49], v[24:25]
	v_add_f64 v[8:9], v[141:142], v[201:202]
	v_fma_f64 v[32:33], v[173:174], v[52:53], v[16:17]
	v_fma_f64 v[46:47], v[175:176], v[52:53], -v[18:19]
	v_add_f64 v[16:17], v[127:128], v[135:136]
	v_fma_f64 v[26:27], v[10:11], v[48:49], -v[26:27]
	v_fma_f64 v[52:53], v[159:160], v[60:61], -v[36:37]
	v_fma_f64 v[10:11], v[38:39], -0.5, v[129:130]
	v_add_f64 v[48:49], v[133:134], -v[199:200]
	v_fma_f64 v[28:29], v[185:186], v[64:65], v[28:29]
	v_add_f64 v[60:61], v[141:142], -v[201:202]
	v_fma_f64 v[36:37], v[12:13], v[68:69], v[44:45]
	v_fma_f64 v[38:39], v[14:15], v[68:69], -v[50:51]
	v_add_f64 v[12:13], v[125:126], -v[127:128]
	v_add_f64 v[14:15], v[197:198], -v[135:136]
	v_add_f64 v[44:45], v[141:142], -v[139:140]
	v_add_f64 v[50:51], v[201:202], -v[2:3]
	v_add_f64 v[64:65], v[193:194], -v[195:196]
	v_add_f64 v[18:19], v[125:126], v[197:198]
	v_add_f64 v[68:69], v[145:146], v[133:134]
	v_add_f64 v[159:160], v[131:132], -v[137:138]
	v_fma_f64 v[66:67], v[66:67], -0.5, v[145:146]
	v_fma_f64 v[56:57], v[56:57], -0.5, v[183:184]
	;; [unrolled: 1-line block ×4, first 2 shown]
	v_add_f64 v[163:164], v[163:164], v[165:166]
	v_fma_f64 v[16:17], v[16:17], -0.5, v[181:182]
	v_add_f64 v[157:158], v[157:158], v[137:138]
	v_add_f64 v[129:130], v[129:130], v[141:142]
	;; [unrolled: 1-line block ×3, first 2 shown]
	v_fma_f64 v[161:162], v[48:49], s[6:7], v[10:11]
	v_fma_f64 v[10:11], v[48:49], s[12:13], v[10:11]
	;; [unrolled: 1-line block ×3, first 2 shown]
	v_add_f64 v[133:134], v[193:194], -v[133:134]
	v_add_f64 v[173:174], v[127:128], -v[135:136]
	v_fma_f64 v[42:43], v[60:61], s[6:7], v[42:43]
	v_add_f64 v[12:13], v[12:13], v[14:15]
	v_add_f64 v[14:15], v[44:45], v[50:51]
	v_add_f64 v[44:45], v[139:140], -v[141:142]
	v_add_f64 v[50:51], v[2:3], -v[201:202]
	v_fma_f64 v[18:19], v[18:19], -0.5, v[181:182]
	v_add_f64 v[68:69], v[68:69], v[193:194]
	v_add_f64 v[159:160], v[159:160], v[171:172]
	v_add_f64 v[141:142], v[195:196], -v[199:200]
	v_fma_f64 v[145:146], v[64:65], s[12:13], v[8:9]
	v_fma_f64 v[8:9], v[64:65], s[6:7], v[8:9]
	v_add_f64 v[171:172], v[125:126], -v[197:198]
	v_add_f64 v[125:126], v[127:128], -v[125:126]
	v_add_f64 v[127:128], v[135:136], -v[197:198]
	v_add_f64 v[70:71], v[70:71], v[135:136]
	v_fma_f64 v[161:162], v[64:65], s[4:5], v[161:162]
	v_fma_f64 v[10:11], v[64:65], s[10:11], v[10:11]
	;; [unrolled: 1-line block ×3, first 2 shown]
	v_add_f64 v[167:168], v[131:132], -v[0:1]
	v_add_f64 v[131:132], v[137:138], -v[131:132]
	;; [unrolled: 1-line block ×3, first 2 shown]
	v_add_f64 v[64:65], v[129:130], v[139:140]
	v_fma_f64 v[42:43], v[169:170], s[4:5], v[42:43]
	v_add_f64 v[44:45], v[44:45], v[50:51]
	v_fma_f64 v[50:51], v[169:170], s[6:7], v[66:67]
	v_fma_f64 v[66:67], v[169:170], s[12:13], v[66:67]
	v_add_f64 v[68:69], v[68:69], v[195:196]
	v_add_f64 v[129:130], v[133:134], v[141:142]
	v_fma_f64 v[145:146], v[48:49], s[4:5], v[145:146]
	v_fma_f64 v[8:9], v[48:49], s[10:11], v[8:9]
	;; [unrolled: 1-line block ×6, first 2 shown]
	v_add_f64 v[14:15], v[70:71], v[197:198]
	v_fma_f64 v[133:134], v[167:168], s[12:13], v[16:17]
	v_fma_f64 v[16:17], v[167:168], s[6:7], v[16:17]
	;; [unrolled: 1-line block ×4, first 2 shown]
	v_add_f64 v[2:3], v[64:65], v[2:3]
	v_add_f64 v[64:65], v[125:126], v[127:128]
	s_waitcnt vmcnt(1)
	v_mul_f64 v[175:176], v[78:79], v[74:75]
	v_mul_f64 v[48:49], v[76:77], v[74:75]
	v_add_f64 v[74:75], v[157:158], v[143:144]
	v_add_f64 v[143:144], v[143:144], -v[0:1]
	v_fma_f64 v[50:51], v[60:61], s[10:11], v[50:51]
	v_fma_f64 v[60:61], v[60:61], s[4:5], v[66:67]
	v_fma_f64 v[139:140], v[44:45], s[0:1], v[145:146]
	v_fma_f64 v[145:146], v[173:174], s[12:13], v[62:63]
	v_fma_f64 v[8:9], v[44:45], s[0:1], v[8:9]
	v_fma_f64 v[62:63], v[173:174], s[6:7], v[62:63]
	v_fma_f64 v[157:158], v[163:164], s[0:1], v[165:166]
	v_mul_f64 v[66:67], v[161:162], s[10:11]
	v_mul_f64 v[44:45], v[161:162], s[14:15]
	v_add_f64 v[161:162], v[68:69], v[199:200]
	v_fma_f64 v[70:71], v[137:138], s[10:11], v[133:134]
	v_fma_f64 v[16:17], v[137:138], s[4:5], v[16:17]
	;; [unrolled: 1-line block ×5, first 2 shown]
	v_add_f64 v[2:3], v[2:3], v[201:202]
	v_fma_f64 v[163:164], v[173:174], s[10:11], v[56:57]
	v_mul_f64 v[165:166], v[10:11], s[18:19]
	v_add_f64 v[0:1], v[74:75], v[0:1]
	v_add_f64 v[68:69], v[131:132], v[143:144]
	v_fma_f64 v[74:75], v[173:174], s[4:5], v[135:136]
	v_fma_f64 v[50:51], v[129:130], s[0:1], v[50:51]
	v_mul_f64 v[125:126], v[139:140], s[12:13]
	v_mul_f64 v[131:132], v[139:140], s[0:1]
	v_fma_f64 v[133:134], v[171:172], s[4:5], v[145:146]
	v_fma_f64 v[129:130], v[129:130], s[0:1], v[60:61]
	v_mul_f64 v[135:136], v[8:9], s[12:13]
	s_waitcnt vmcnt(0) lgkmcnt(0)
	v_mul_f64 v[139:140], v[6:7], v[179:180]
	v_mul_f64 v[143:144], v[10:11], s[10:11]
	v_fma_f64 v[62:63], v[171:172], s[10:11], v[62:63]
	v_mul_f64 v[8:9], v[8:9], s[16:17]
	v_fma_f64 v[145:146], v[157:158], s[14:15], v[66:67]
	v_fma_f64 v[157:158], v[157:158], s[4:5], v[44:45]
	;; [unrolled: 1-line block ×4, first 2 shown]
	v_fma_f64 v[44:45], v[78:79], v[72:73], -v[48:49]
	v_fma_f64 v[60:61], v[64:65], s[0:1], v[18:19]
	v_fma_f64 v[56:57], v[12:13], s[0:1], v[16:17]
	;; [unrolled: 1-line block ×3, first 2 shown]
	v_mul_f64 v[141:142], v[4:5], v[179:180]
	v_add_f64 v[10:11], v[0:1], v[2:3]
	v_fma_f64 v[70:71], v[159:160], s[0:1], v[163:164]
	v_fma_f64 v[169:170], v[159:160], s[0:1], v[74:75]
	;; [unrolled: 1-line block ×6, first 2 shown]
	ds_read_b128 v[131:134], v91
	v_fma_f64 v[66:67], v[129:130], s[16:17], v[135:136]
	v_fma_f64 v[48:49], v[4:5], v[177:178], v[139:140]
	;; [unrolled: 1-line block ×3, first 2 shown]
	v_add_f64 v[139:140], v[115:116], v[99:100]
	v_fma_f64 v[62:63], v[68:69], s[0:1], v[62:63]
	v_fma_f64 v[68:69], v[129:130], s[6:7], v[8:9]
	v_add_f64 v[8:9], v[14:15], v[161:162]
	v_add_f64 v[4:5], v[14:15], -v[161:162]
	v_mov_b32_e32 v173, 0x640
	v_add_f64 v[159:160], v[117:118], -v[113:114]
	v_add_f64 v[161:162], v[58:59], -v[86:87]
	;; [unrolled: 1-line block ×3, first 2 shown]
	v_add_f64 v[16:17], v[167:168], v[145:146]
	v_fma_f64 v[50:51], v[6:7], v[177:178], -v[141:142]
	v_mul_u32_u24_sdwa v141, v155, v173 dst_sel:DWORD dst_unused:UNUSED_PAD src0_sel:WORD_0 src1_sel:DWORD
	v_add_f64 v[6:7], v[0:1], -v[2:3]
	v_add_f64 v[18:19], v[169:170], v[157:158]
	v_add_f64 v[0:1], v[167:168], -v[145:146]
	v_add_f64 v[12:13], v[76:77], v[74:75]
	;; [unrolled: 2-line block ×4, first 2 shown]
	v_add_f64 v[78:79], v[123:124], v[84:85]
	v_add_f64 v[60:61], v[60:61], -v[66:67]
	v_add_f64 v[66:67], v[56:57], v[64:65]
	v_add_f64 v[135:136], v[56:57], -v[64:65]
	v_add_f64 v[56:57], v[113:114], v[86:87]
	v_fma_f64 v[64:65], v[139:140], -0.5, v[121:122]
	v_add_f64 v[139:140], v[117:118], -v[58:59]
	v_add_f64 v[129:130], v[62:63], v[68:69]
	v_mov_b32_e32 v126, 4
	v_mad_i32_i24 v125, 0xffffff70, v98, v148
	v_add_f64 v[62:63], v[62:63], -v[68:69]
	v_add_f64 v[68:69], v[70:71], v[72:73]
	v_add_f64 v[137:138], v[70:71], -v[72:73]
	v_lshlrev_b32_sdwa v142, v126, v156 dst_sel:DWORD dst_unused:UNUSED_PAD src0_sel:DWORD src1_sel:BYTE_0
	ds_read_b128 v[70:73], v125
	s_waitcnt lgkmcnt(0)
	s_barrier
	buffer_gl0_inv
	v_add3_u32 v174, 0, v141, v142
	v_add_f64 v[141:142], v[111:112], v[109:110]
	v_add_f64 v[143:144], v[131:132], v[103:104]
	;; [unrolled: 1-line block ×3, first 2 shown]
	v_fma_f64 v[78:79], v[78:79], -0.5, v[121:122]
	v_add_f64 v[155:156], v[113:114], -v[86:87]
	ds_write_b128 v174, v[8:11]
	ds_write_b128 v174, v[16:19] offset:160
	v_add_f64 v[10:11], v[107:108], v[105:106]
	ds_write_b128 v174, v[12:15] offset:320
	ds_write_b128 v174, v[127:130] offset:480
	v_add_f64 v[12:13], v[123:124], -v[115:116]
	v_add_f64 v[14:15], v[84:85], -v[99:100]
	v_fma_f64 v[18:19], v[56:57], -0.5, v[119:120]
	v_add_f64 v[56:57], v[123:124], -v[84:85]
	v_fma_f64 v[127:128], v[139:140], s[6:7], v[64:65]
	v_add_f64 v[8:9], v[103:104], v[80:81]
	v_add_f64 v[2:3], v[169:170], -v[157:158]
	v_add_f64 v[157:158], v[133:134], v[101:102]
	v_add_f64 v[16:17], v[101:102], v[82:83]
	ds_write_b128 v174, v[66:69] offset:640
	ds_write_b128 v174, v[4:7] offset:800
	v_add_f64 v[4:5], v[115:116], -v[123:124]
	v_add_f64 v[6:7], v[99:100], -v[84:85]
	v_fma_f64 v[66:67], v[141:142], -0.5, v[131:132]
	v_add_f64 v[68:69], v[143:144], v[111:112]
	v_add_f64 v[129:130], v[115:116], -v[99:100]
	v_fma_f64 v[141:142], v[145:146], -0.5, v[119:120]
	v_fma_f64 v[143:144], v[155:156], s[12:13], v[78:79]
	v_add_f64 v[119:120], v[119:120], v[117:118]
	v_add_f64 v[121:122], v[121:122], v[123:124]
	v_fma_f64 v[10:11], v[10:11], -0.5, v[133:134]
	v_fma_f64 v[78:79], v[155:156], s[6:7], v[78:79]
	v_add_f64 v[167:168], v[103:104], -v[80:81]
	v_add_f64 v[123:124], v[103:104], -v[111:112]
	v_add_f64 v[12:13], v[12:13], v[14:15]
	v_add_f64 v[165:166], v[82:83], -v[105:106]
	v_fma_f64 v[14:15], v[56:57], s[12:13], v[18:19]
	v_fma_f64 v[127:128], v[155:156], s[4:5], v[127:128]
	v_fma_f64 v[8:9], v[8:9], -0.5, v[131:132]
	v_add_f64 v[131:132], v[101:102], -v[82:83]
	v_add_f64 v[145:146], v[157:158], v[107:108]
	v_add_f64 v[157:158], v[80:81], -v[109:110]
	v_add_f64 v[117:118], v[113:114], -v[117:118]
	v_fma_f64 v[16:17], v[16:17], -0.5, v[133:134]
	v_add_f64 v[4:5], v[4:5], v[6:7]
	v_add_f64 v[6:7], v[86:87], -v[58:59]
	v_add_f64 v[133:134], v[107:108], -v[105:106]
	v_add_f64 v[171:172], v[111:112], -v[109:110]
	v_fma_f64 v[169:170], v[129:130], s[6:7], v[141:142]
	v_fma_f64 v[143:144], v[139:140], s[4:5], v[143:144]
	v_add_f64 v[113:114], v[119:120], v[113:114]
	v_add_f64 v[115:116], v[121:122], v[115:116]
	v_fma_f64 v[64:65], v[139:140], s[12:13], v[64:65]
	v_add_f64 v[119:120], v[159:160], v[161:162]
	v_add_f64 v[103:104], v[111:112], -v[103:104]
	v_add_f64 v[111:112], v[109:110], -v[80:81]
	ds_write_b128 v174, v[0:3] offset:960
	v_add_f64 v[0:1], v[68:69], v[109:110]
	v_fma_f64 v[14:15], v[129:130], s[10:11], v[14:15]
	v_fma_f64 v[121:122], v[12:13], s[0:1], v[127:128]
	;; [unrolled: 1-line block ×5, first 2 shown]
	v_add_f64 v[101:102], v[107:108], -v[101:102]
	v_add_f64 v[107:108], v[105:106], -v[82:83]
	v_fma_f64 v[78:79], v[131:132], s[12:13], v[66:67]
	v_add_f64 v[105:106], v[145:146], v[105:106]
	v_add_f64 v[6:7], v[117:118], v[6:7]
	v_fma_f64 v[139:140], v[133:134], s[6:7], v[8:9]
	v_fma_f64 v[141:142], v[171:172], s[12:13], v[16:17]
	;; [unrolled: 1-line block ×5, first 2 shown]
	v_add_f64 v[143:144], v[163:164], v[165:166]
	v_fma_f64 v[64:65], v[155:156], s[10:11], v[64:65]
	v_add_f64 v[99:100], v[115:116], v[99:100]
	v_add_f64 v[86:87], v[113:114], v[86:87]
	;; [unrolled: 1-line block ×3, first 2 shown]
	v_fma_f64 v[16:17], v[171:172], s[6:7], v[16:17]
	v_add_f64 v[123:124], v[123:124], v[157:158]
	v_fma_f64 v[14:15], v[119:120], s[0:1], v[14:15]
	v_mul_f64 v[111:112], v[121:122], s[14:15]
	v_fma_f64 v[2:3], v[4:5], s[0:1], v[2:3]
	v_fma_f64 v[56:57], v[56:57], s[4:5], v[68:69]
	;; [unrolled: 1-line block ×4, first 2 shown]
	v_add_f64 v[101:102], v[101:102], v[107:108]
	v_mul_f64 v[107:108], v[121:122], s[10:11]
	v_fma_f64 v[4:5], v[133:134], s[10:11], v[78:79]
	v_fma_f64 v[66:67], v[131:132], s[6:7], v[66:67]
	;; [unrolled: 1-line block ×3, first 2 shown]
	v_add_f64 v[0:1], v[0:1], v[80:81]
	v_fma_f64 v[78:79], v[6:7], s[0:1], v[117:118]
	v_mul_f64 v[109:110], v[127:128], s[12:13]
	v_mul_f64 v[113:114], v[127:128], s[0:1]
	v_fma_f64 v[117:118], v[167:168], s[4:5], v[141:142]
	v_fma_f64 v[18:19], v[129:130], s[4:5], v[18:19]
	;; [unrolled: 1-line block ×3, first 2 shown]
	v_add_f64 v[80:81], v[105:106], v[82:83]
	v_add_f64 v[58:59], v[86:87], v[58:59]
	v_add_f64 v[82:83], v[99:100], v[84:85]
	v_fma_f64 v[10:11], v[167:168], s[12:13], v[10:11]
	ds_write_b128 v174, v[74:77] offset:1120
	v_fma_f64 v[76:77], v[14:15], s[4:5], v[111:112]
	v_fma_f64 v[84:85], v[167:168], s[10:11], v[16:17]
	;; [unrolled: 1-line block ×3, first 2 shown]
	v_mul_f64 v[56:57], v[2:3], s[12:13]
	v_mul_f64 v[2:3], v[2:3], s[16:17]
	v_fma_f64 v[68:69], v[143:144], s[0:1], v[68:69]
	v_fma_f64 v[74:75], v[14:15], s[14:15], v[107:108]
	;; [unrolled: 1-line block ×6, first 2 shown]
	v_add_f64 v[111:112], v[52:53], v[38:39]
	v_fma_f64 v[86:87], v[78:79], s[0:1], v[109:110]
	v_fma_f64 v[78:79], v[78:79], s[6:7], v[113:114]
	;; [unrolled: 1-line block ×4, first 2 shown]
	v_mul_f64 v[109:110], v[64:65], s[10:11]
	v_mul_f64 v[64:65], v[64:65], s[18:19]
	v_add_f64 v[12:13], v[0:1], v[58:59]
	v_add_f64 v[14:15], v[80:81], v[82:83]
	v_fma_f64 v[10:11], v[171:172], s[10:11], v[10:11]
	v_add_f64 v[16:17], v[0:1], -v[58:59]
	v_add_f64 v[18:19], v[80:81], -v[82:83]
	v_fma_f64 v[80:81], v[101:102], s[0:1], v[84:85]
	ds_write_b128 v174, v[60:63] offset:1280
	ds_write_b128 v174, v[135:138] offset:1440
	v_fma_f64 v[82:83], v[6:7], s[16:17], v[56:57]
	v_fma_f64 v[84:85], v[6:7], s[6:7], v[2:3]
	v_add_f64 v[58:59], v[68:69], v[76:77]
	v_add_f64 v[2:3], v[68:69], -v[76:77]
	v_add_f64 v[76:77], v[70:71], v[20:21]
	v_fma_f64 v[8:9], v[103:104], s[0:1], v[8:9]
	v_add_f64 v[56:57], v[4:5], v[74:75]
	v_add_f64 v[0:1], v[4:5], -v[74:75]
	v_add_f64 v[74:75], v[46:47], v[50:51]
	v_add_f64 v[60:61], v[99:100], v[86:87]
	v_fma_f64 v[68:69], v[123:124], s[0:1], v[66:67]
	v_add_f64 v[62:63], v[105:106], v[78:79]
	v_add_f64 v[4:5], v[99:100], -v[86:87]
	v_fma_f64 v[101:102], v[107:108], s[18:19], v[109:110]
	v_add_f64 v[6:7], v[105:106], -v[78:79]
	v_add_f64 v[99:100], v[34:35], v[36:37]
	v_fma_f64 v[103:104], v[111:112], -0.5, v[54:55]
	v_fma_f64 v[78:79], v[143:144], s[0:1], v[10:11]
	v_add_f64 v[105:106], v[32:33], -v[48:49]
	v_add_f64 v[109:110], v[40:41], v[32:33]
	v_add_f64 v[111:112], v[54:55], v[46:47]
	;; [unrolled: 1-line block ×7, first 2 shown]
	v_add_f64 v[10:11], v[80:81], -v[84:85]
	v_add_f64 v[80:81], v[22:23], v[44:45]
	v_add_f64 v[84:85], v[76:77], v[24:25]
	v_fma_f64 v[107:108], v[107:108], s[4:5], v[64:65]
	v_add_f64 v[64:65], v[8:9], v[82:83]
	v_add_f64 v[8:9], v[8:9], -v[82:83]
	v_add_f64 v[82:83], v[34:35], -v[36:37]
	v_fma_f64 v[54:55], v[74:75], -0.5, v[54:55]
	v_add_f64 v[86:87], v[72:73], v[22:23]
	v_add_f64 v[121:122], v[46:47], -v[52:53]
	v_add_f64 v[123:124], v[50:51], -v[38:39]
	v_fma_f64 v[99:100], v[99:100], -0.5, v[40:41]
	v_add_f64 v[127:128], v[46:47], -v[50:51]
	v_add_f64 v[131:132], v[52:53], -v[38:39]
	v_fma_f64 v[129:130], v[105:106], s[6:7], v[103:104]
	v_add_f64 v[109:110], v[109:110], v[34:35]
	v_add_f64 v[111:112], v[111:112], v[52:53]
	v_add_f64 v[46:47], v[52:53], -v[46:47]
	v_add_f64 v[52:53], v[38:39], -v[50:51]
	v_fma_f64 v[40:41], v[113:114], -0.5, v[40:41]
	v_fma_f64 v[115:116], v[115:116], -0.5, v[70:71]
	v_fma_f64 v[70:71], v[117:118], -0.5, v[70:71]
	v_fma_f64 v[117:118], v[119:120], -0.5, v[72:73]
	v_fma_f64 v[72:73], v[80:81], -0.5, v[72:73]
	v_add_f64 v[80:81], v[84:85], v[28:29]
	v_fma_f64 v[84:85], v[105:106], s[12:13], v[103:104]
	v_add_f64 v[119:120], v[32:33], -v[34:35]
	v_add_f64 v[133:134], v[48:49], -v[36:37]
	v_add_f64 v[32:33], v[34:35], -v[32:33]
	v_fma_f64 v[113:114], v[82:83], s[12:13], v[54:55]
	v_fma_f64 v[54:55], v[82:83], s[6:7], v[54:55]
	v_add_f64 v[34:35], v[36:37], -v[48:49]
	v_add_f64 v[103:104], v[121:122], v[123:124]
	v_add_f64 v[135:136], v[24:25], -v[28:29]
	v_fma_f64 v[121:122], v[127:128], s[12:13], v[99:100]
	v_fma_f64 v[99:100], v[127:128], s[6:7], v[99:100]
	;; [unrolled: 1-line block ×3, first 2 shown]
	v_add_f64 v[109:110], v[109:110], v[36:37]
	v_add_f64 v[129:130], v[22:23], -v[44:45]
	v_add_f64 v[38:39], v[111:112], v[38:39]
	v_add_f64 v[111:112], v[20:21], -v[42:43]
	v_add_f64 v[36:37], v[46:47], v[52:53]
	v_fma_f64 v[46:47], v[131:132], s[6:7], v[40:41]
	v_fma_f64 v[40:41], v[131:132], s[12:13], v[40:41]
	v_add_f64 v[86:87], v[86:87], v[26:27]
	v_add_f64 v[137:138], v[20:21], -v[24:25]
	v_add_f64 v[20:21], v[24:25], -v[20:21]
	v_fma_f64 v[82:83], v[82:83], s[10:11], v[84:85]
	v_add_f64 v[84:85], v[44:45], -v[30:31]
	v_add_f64 v[119:120], v[119:120], v[133:134]
	v_add_f64 v[133:134], v[42:43], -v[28:29]
	v_fma_f64 v[52:53], v[105:106], s[4:5], v[113:114]
	v_add_f64 v[113:114], v[26:27], -v[30:31]
	v_fma_f64 v[54:55], v[105:106], s[10:11], v[54:55]
	v_add_f64 v[105:106], v[22:23], -v[26:27]
	v_add_f64 v[22:23], v[26:27], -v[22:23]
	v_fma_f64 v[121:122], v[131:132], s[10:11], v[121:122]
	v_add_f64 v[32:33], v[32:33], v[34:35]
	v_fma_f64 v[123:124], v[103:104], s[0:1], v[123:124]
	v_fma_f64 v[99:100], v[131:132], s[4:5], v[99:100]
	;; [unrolled: 1-line block ×10, first 2 shown]
	v_add_f64 v[86:87], v[86:87], v[30:31]
	v_fma_f64 v[82:83], v[103:104], s[0:1], v[82:83]
	v_add_f64 v[28:29], v[28:29], -v[42:43]
	v_add_f64 v[30:31], v[30:31], -v[44:45]
	v_add_f64 v[42:43], v[80:81], v[42:43]
	v_fma_f64 v[46:47], v[36:37], s[0:1], v[52:53]
	v_fma_f64 v[52:53], v[113:114], s[6:7], v[70:71]
	;; [unrolled: 1-line block ×4, first 2 shown]
	v_add_f64 v[54:55], v[137:138], v[133:134]
	v_add_f64 v[84:85], v[105:106], v[84:85]
	v_fma_f64 v[103:104], v[119:120], s[0:1], v[121:122]
	v_mul_f64 v[105:106], v[123:124], s[10:11]
	v_mul_f64 v[121:122], v[123:124], s[14:15]
	v_fma_f64 v[24:25], v[113:114], s[10:11], v[24:25]
	v_fma_f64 v[99:100], v[119:120], s[0:1], v[99:100]
	v_fma_f64 v[26:27], v[135:136], s[4:5], v[26:27]
	v_add_f64 v[48:49], v[109:110], v[48:49]
	v_add_f64 v[38:39], v[38:39], v[50:51]
	;; [unrolled: 1-line block ×3, first 2 shown]
	v_fma_f64 v[123:124], v[111:112], s[4:5], v[127:128]
	v_fma_f64 v[72:73], v[111:112], s[10:11], v[72:73]
	;; [unrolled: 1-line block ×4, first 2 shown]
	v_mul_f64 v[115:116], v[82:83], s[10:11]
	v_mul_f64 v[82:83], v[82:83], s[18:19]
	v_add_f64 v[28:29], v[20:21], v[28:29]
	v_add_f64 v[22:23], v[22:23], v[30:31]
	v_fma_f64 v[30:31], v[32:33], s[0:1], v[34:35]
	v_mul_f64 v[34:35], v[46:47], s[12:13]
	v_mul_f64 v[46:47], v[46:47], s[0:1]
	v_fma_f64 v[52:53], v[129:130], s[10:11], v[52:53]
	v_fma_f64 v[70:71], v[129:130], s[4:5], v[70:71]
	;; [unrolled: 1-line block ×3, first 2 shown]
	v_mul_f64 v[40:41], v[36:37], s[12:13]
	v_mul_f64 v[36:37], v[36:37], s[16:17]
	v_add_f64 v[44:45], v[86:87], v[44:45]
	v_add_f64 v[76:77], v[78:79], v[107:108]
	v_add_f64 v[20:21], v[68:69], -v[101:102]
	v_fma_f64 v[50:51], v[103:104], s[14:15], v[105:106]
	v_fma_f64 v[68:69], v[103:104], s[4:5], v[121:122]
	;; [unrolled: 1-line block ×4, first 2 shown]
	v_mul_u32_u24_sdwa v139, v154, v173 dst_sel:DWORD dst_unused:UNUSED_PAD src0_sel:WORD_0 src1_sel:DWORD
	v_fma_f64 v[54:55], v[54:55], s[0:1], v[111:112]
	v_fma_f64 v[84:85], v[84:85], s[0:1], v[113:114]
	;; [unrolled: 1-line block ×4, first 2 shown]
	v_lshlrev_b32_sdwa v140, v126, v151 dst_sel:DWORD dst_unused:UNUSED_PAD src0_sel:DWORD src1_sel:BYTE_0
	v_fma_f64 v[72:73], v[22:23], s[0:1], v[72:73]
	s_mov_b32 s5, 0x3febb67a
	v_fma_f64 v[101:102], v[30:31], s[0:1], v[34:35]
	v_fma_f64 v[103:104], v[30:31], s[6:7], v[46:47]
	;; [unrolled: 1-line block ×7, first 2 shown]
	v_add3_u32 v117, 0, v139, v140
	v_add_f64 v[22:23], v[78:79], -v[107:108]
	ds_write_b128 v117, v[12:15]
	ds_write_b128 v117, v[56:59] offset:160
	ds_write_b128 v117, v[60:63] offset:320
	;; [unrolled: 1-line block ×5, first 2 shown]
	v_add_f64 v[12:13], v[42:43], v[48:49]
	v_add_f64 v[14:15], v[44:45], v[38:39]
	v_add_nc_u32_e32 v56, 0xffffff9c, v88
	v_cmp_gt_u32_e64 s0, 0x64, v88
	v_add_f64 v[16:17], v[42:43], -v[48:49]
	v_add_f64 v[18:19], v[44:45], -v[38:39]
	v_add_f64 v[24:25], v[80:81], v[50:51]
	v_add_f64 v[26:27], v[86:87], v[68:69]
	v_cndmask_b32_e64 v120, v56, v88, s0
	ds_write_b128 v117, v[0:3] offset:960
	v_add_f64 v[0:1], v[54:55], -v[111:112]
	v_add_f64 v[2:3], v[84:85], -v[82:83]
	;; [unrolled: 1-line block ×4, first 2 shown]
	v_add_f64 v[32:33], v[46:47], v[101:102]
	v_add_f64 v[34:35], v[52:53], v[103:104]
	v_add_f64 v[36:37], v[46:47], -v[101:102]
	v_add_f64 v[40:41], v[70:71], v[105:106]
	v_add_f64 v[42:43], v[72:73], v[109:110]
	v_add_f64 v[38:39], v[52:53], -v[103:104]
	v_mul_u32_u24_e32 v52, 0x640, v152
	v_lshlrev_b32_sdwa v53, v126, v153 dst_sel:DWORD dst_unused:UNUSED_PAD src0_sel:DWORD src1_sel:WORD_0
	v_add_f64 v[44:45], v[54:55], v[111:112]
	v_add_f64 v[46:47], v[84:85], v[82:83]
	v_add_f64 v[48:49], v[70:71], -v[105:106]
	v_add_f64 v[50:51], v[72:73], -v[109:110]
	v_mul_i32_i24_e32 v67, 5, v120
	v_mov_b32_e32 v68, 0
	v_add3_u32 v52, 0, v52, v53
	ds_write_b128 v117, v[4:7] offset:1120
	ds_write_b128 v117, v[8:11] offset:1280
	;; [unrolled: 1-line block ×3, first 2 shown]
	ds_write_b128 v52, v[12:15]
	ds_write_b128 v52, v[24:27] offset:160
	ds_write_b128 v52, v[32:35] offset:320
	ds_write_b128 v52, v[40:43] offset:480
	ds_write_b128 v52, v[44:47] offset:640
	v_lshlrev_b64 v[4:5], 4, v[67:68]
	ds_write_b128 v52, v[16:19] offset:800
	ds_write_b128 v52, v[28:31] offset:960
	;; [unrolled: 1-line block ×5, first 2 shown]
	s_waitcnt lgkmcnt(0)
	s_barrier
	buffer_gl0_inv
	v_add_co_u32 v4, s0, s8, v4
	v_add_co_ci_u32_e64 v5, s0, s9, v5, s0
	v_mul_lo_u16 v0, v150, 41
	v_lshrrev_b16 v2, 2, v98
	v_mov_b32_e32 v3, 0x147b
	s_clause 0x2
	global_load_dwordx4 v[16:19], v[4:5], off offset:1440
	global_load_dwordx4 v[32:35], v[4:5], off offset:1456
	;; [unrolled: 1-line block ×3, first 2 shown]
	v_lshrrev_b16 v121, 12, v0
	s_clause 0x1
	global_load_dwordx4 v[24:27], v[4:5], off offset:1488
	global_load_dwordx4 v[20:23], v[4:5], off offset:1504
	v_mul_u32_u24_sdwa v2, v2, v3 dst_sel:DWORD dst_unused:UNUSED_PAD src0_sel:WORD_0 src1_sel:DWORD
	s_mov_b32 s6, 0xe8584caa
	v_mul_lo_u16 v0, 0x64, v121
	s_mov_b32 s7, 0xbfebb67a
	s_mov_b32 s4, s6
	v_lshrrev_b32_e32 v116, 17, v2
	v_cmp_lt_u32_e64 s0, 0x63, v88
	v_sub_nc_u16 v122, v90, v0
	v_mov_b32_e32 v0, 5
	v_lshlrev_b32_e32 v120, 4, v120
	v_mul_lo_u16 v2, 0x64, v116
	s_add_u32 s1, s8, 0xe060
	v_mul_u32_u24_sdwa v1, v122, v0 dst_sel:DWORD dst_unused:UNUSED_PAD src0_sel:BYTE_0 src1_sel:DWORD
	v_lshlrev_b32_sdwa v122, v126, v122 dst_sel:DWORD dst_unused:UNUSED_PAD src0_sel:DWORD src1_sel:BYTE_0
	v_sub_nc_u16 v117, v98, v2
	v_lshlrev_b32_e32 v1, 4, v1
	v_mul_u32_u24_sdwa v2, v117, v0 dst_sel:DWORD dst_unused:UNUSED_PAD src0_sel:WORD_0 src1_sel:DWORD
	s_clause 0x4
	global_load_dwordx4 v[36:39], v1, s[8:9] offset:1440
	global_load_dwordx4 v[56:59], v1, s[8:9] offset:1456
	;; [unrolled: 1-line block ×5, first 2 shown]
	v_lshlrev_b32_e32 v1, 4, v2
	s_clause 0x1
	global_load_dwordx4 v[60:63], v1, s[8:9] offset:1440
	global_load_dwordx4 v[64:67], v1, s[8:9] offset:1456
	v_lshrrev_b16 v2, 2, v97
	s_clause 0x2
	global_load_dwordx4 v[127:130], v1, s[8:9] offset:1472
	global_load_dwordx4 v[131:134], v1, s[8:9] offset:1488
	;; [unrolled: 1-line block ×3, first 2 shown]
	v_mul_u32_u24_sdwa v2, v2, v3 dst_sel:DWORD dst_unused:UNUSED_PAD src0_sel:WORD_0 src1_sel:DWORD
	v_lshrrev_b32_e32 v87, 17, v2
	v_mul_lo_u16 v2, 0x64, v87
	v_sub_nc_u16 v115, v97, v2
	v_lshrrev_b16 v2, 2, v96
	v_mul_u32_u24_sdwa v1, v115, v0 dst_sel:DWORD dst_unused:UNUSED_PAD src0_sel:WORD_0 src1_sel:DWORD
	v_mul_u32_u24_sdwa v2, v2, v3 dst_sel:DWORD dst_unused:UNUSED_PAD src0_sel:WORD_0 src1_sel:DWORD
	v_lshlrev_b32_e32 v1, 4, v1
	s_clause 0x3
	global_load_dwordx4 v[139:142], v1, s[8:9] offset:1440
	global_load_dwordx4 v[143:146], v1, s[8:9] offset:1456
	;; [unrolled: 1-line block ×4, first 2 shown]
	v_lshrrev_b32_e32 v118, 17, v2
	v_mul_lo_u16 v2, 0x64, v118
	v_sub_nc_u16 v119, v96, v2
	v_mul_u32_u24_sdwa v0, v119, v0 dst_sel:DWORD dst_unused:UNUSED_PAD src0_sel:WORD_0 src1_sel:DWORD
	v_lshlrev_b32_e32 v12, 4, v0
	s_clause 0x5
	global_load_dwordx4 v[158:161], v1, s[8:9] offset:1504
	global_load_dwordx4 v[162:165], v12, s[8:9] offset:1440
	;; [unrolled: 1-line block ×6, first 2 shown]
	ds_read_b128 v[69:72], v147 offset:9600
	ds_read_b128 v[73:76], v147 offset:19200
	;; [unrolled: 1-line block ×3, first 2 shown]
	ds_read_b128 v[166:169], v147
	ds_read_b128 v[81:84], v147 offset:38400
	ds_read_b128 v[170:173], v147 offset:48000
	;; [unrolled: 1-line block ×6, first 2 shown]
	s_waitcnt vmcnt(24) lgkmcnt(9)
	v_mul_f64 v[85:86], v[71:72], v[18:19]
	v_mul_f64 v[18:19], v[69:70], v[18:19]
	s_waitcnt vmcnt(23) lgkmcnt(8)
	v_mul_f64 v[101:102], v[75:76], v[34:35]
	v_mul_f64 v[34:35], v[73:74], v[34:35]
	s_waitcnt vmcnt(22) lgkmcnt(7)
	v_mul_f64 v[103:104], v[79:80], v[30:31]
	v_mul_f64 v[105:106], v[77:78], v[30:31]
	v_fma_f64 v[123:124], v[69:70], v[16:17], v[85:86]
	s_waitcnt vmcnt(21) lgkmcnt(5)
	v_mul_f64 v[69:70], v[83:84], v[26:27]
	v_mul_f64 v[85:86], v[81:82], v[26:27]
	v_fma_f64 v[99:100], v[71:72], v[16:17], -v[18:19]
	ds_read_b128 v[16:19], v147 offset:46080
	s_waitcnt vmcnt(20) lgkmcnt(5)
	v_mul_f64 v[71:72], v[172:173], v[22:23]
	v_mul_f64 v[22:23], v[170:171], v[22:23]
	v_fma_f64 v[111:112], v[75:76], v[32:33], -v[34:35]
	v_fma_f64 v[186:187], v[77:78], v[28:29], v[103:104]
	v_fma_f64 v[113:114], v[79:80], v[28:29], -v[105:106]
	ds_read_b128 v[26:29], v147 offset:13440
	s_waitcnt vmcnt(19) lgkmcnt(4)
	v_mul_f64 v[34:35], v[180:181], v[38:39]
	v_mul_f64 v[38:39], v[178:179], v[38:39]
	v_fma_f64 v[107:108], v[73:74], v[32:33], v[101:102]
	ds_read_b128 v[30:33], v147 offset:30720
	v_fma_f64 v[105:106], v[81:82], v[24:25], v[69:70]
	v_fma_f64 v[101:102], v[83:84], v[24:25], -v[85:86]
	s_waitcnt vmcnt(18)
	v_mul_f64 v[24:25], v[176:177], v[58:59]
	v_mul_f64 v[58:59], v[174:175], v[58:59]
	v_fma_f64 v[109:110], v[170:171], v[20:21], v[71:72]
	v_fma_f64 v[103:104], v[172:173], v[20:21], -v[22:23]
	ds_read_b128 v[20:23], v147 offset:32640
	ds_read_b128 v[170:173], v147 offset:49920
	s_waitcnt vmcnt(16) lgkmcnt(5)
	v_mul_f64 v[71:72], v[184:185], v[46:47]
	v_fma_f64 v[81:82], v[178:179], v[36:37], v[34:35]
	s_waitcnt lgkmcnt(2)
	v_mul_f64 v[69:70], v[32:33], v[54:55]
	v_mul_f64 v[54:55], v[30:31], v[54:55]
	v_fma_f64 v[77:78], v[180:181], v[36:37], -v[38:39]
	v_mul_f64 v[38:39], v[182:183], v[46:47]
	ds_read_b128 v[34:37], v147 offset:23040
	ds_read_b128 v[178:181], v147 offset:24960
	v_fma_f64 v[73:74], v[174:175], v[56:57], v[24:25]
	v_fma_f64 v[79:80], v[176:177], v[56:57], -v[58:59]
	s_waitcnt vmcnt(15) lgkmcnt(2)
	v_mul_f64 v[46:47], v[170:171], v[50:51]
	v_mul_f64 v[24:25], v[172:173], v[50:51]
	s_waitcnt vmcnt(14)
	v_mul_f64 v[50:51], v[28:29], v[62:63]
	ds_read_b128 v[174:177], v147 offset:51840
	v_fma_f64 v[85:86], v[30:31], v[52:53], v[69:70]
	v_fma_f64 v[83:84], v[32:33], v[52:53], -v[54:55]
	v_fma_f64 v[69:70], v[182:183], v[44:45], v[71:72]
	v_mul_f64 v[52:53], v[26:27], v[62:63]
	v_fma_f64 v[71:72], v[184:185], v[44:45], -v[38:39]
	s_waitcnt vmcnt(13) lgkmcnt(2)
	v_mul_f64 v[38:39], v[34:35], v[66:67]
	s_waitcnt vmcnt(12)
	v_mul_f64 v[44:45], v[22:23], v[129:130]
	ds_read_b128 v[30:33], v147 offset:42240
	v_mul_f64 v[54:55], v[36:37], v[66:67]
	v_fma_f64 v[66:67], v[172:173], v[48:49], -v[46:47]
	v_mul_f64 v[46:47], v[20:21], v[129:130]
	v_fma_f64 v[75:76], v[170:171], v[48:49], v[24:25]
	ds_read_b128 v[170:173], v147 offset:44160
	v_fma_f64 v[56:57], v[26:27], v[60:61], v[50:51]
	ds_read_b128 v[24:27], v147 offset:15360
	v_fma_f64 v[58:59], v[28:29], v[60:61], -v[52:53]
	s_waitcnt vmcnt(10) lgkmcnt(3)
	v_mul_f64 v[52:53], v[174:175], v[137:138]
	s_waitcnt lgkmcnt(2)
	v_mul_f64 v[48:49], v[32:33], v[133:134]
	v_mul_f64 v[28:29], v[30:31], v[133:134]
	v_fma_f64 v[60:61], v[36:37], v[64:65], -v[38:39]
	v_mul_f64 v[38:39], v[176:177], v[137:138]
	v_fma_f64 v[62:63], v[20:21], v[127:128], v[44:45]
	v_add_f64 v[20:21], v[113:114], v[103:104]
	v_fma_f64 v[54:55], v[34:35], v[64:65], v[54:55]
	ds_read_b128 v[34:37], v147 offset:34560
	v_fma_f64 v[64:65], v[22:23], v[127:128], -v[46:47]
	ds_read_b128 v[127:130], v147 offset:17280
	s_waitcnt vmcnt(9) lgkmcnt(2)
	v_mul_f64 v[22:23], v[26:27], v[141:142]
	v_mul_f64 v[44:45], v[24:25], v[141:142]
	s_waitcnt vmcnt(8)
	v_mul_f64 v[141:142], v[180:181], v[145:146]
	v_mul_f64 v[145:146], v[178:179], v[145:146]
	v_fma_f64 v[52:53], v[176:177], v[135:136], -v[52:53]
	v_fma_f64 v[46:47], v[30:31], v[131:132], v[48:49]
	v_fma_f64 v[48:49], v[32:33], v[131:132], -v[28:29]
	ds_read_b128 v[131:134], v147 offset:36480
	v_fma_f64 v[50:51], v[174:175], v[135:136], v[38:39]
	v_add_f64 v[174:175], v[186:187], v[109:110]
	s_waitcnt vmcnt(7) lgkmcnt(2)
	v_mul_f64 v[38:39], v[34:35], v[152:153]
	v_mul_f64 v[28:29], v[36:37], v[152:153]
	v_fma_f64 v[152:153], v[20:21], -0.5, v[99:100]
	v_add_f64 v[176:177], v[186:187], -v[109:110]
	ds_read_b128 v[135:138], v147 offset:53760
	v_add_f64 v[99:100], v[99:100], v[113:114]
	v_fma_f64 v[30:31], v[24:25], v[139:140], v[22:23]
	v_fma_f64 v[32:33], v[26:27], v[139:140], -v[44:45]
	s_waitcnt vmcnt(6)
	v_mul_f64 v[24:25], v[172:173], v[156:157]
	v_mul_f64 v[26:27], v[170:171], v[156:157]
	v_fma_f64 v[20:21], v[178:179], v[143:144], v[141:142]
	ds_read_b128 v[139:142], v147 offset:55680
	v_fma_f64 v[22:23], v[180:181], v[143:144], -v[145:146]
	v_add_f64 v[156:157], v[107:108], v[105:106]
	v_add_f64 v[178:179], v[113:114], -v[103:104]
	v_fma_f64 v[44:45], v[36:37], v[150:151], -v[38:39]
	s_waitcnt vmcnt(4) lgkmcnt(3)
	v_mul_f64 v[36:37], v[129:130], v[164:165]
	s_waitcnt lgkmcnt(1)
	v_mul_f64 v[143:144], v[137:138], v[160:161]
	v_mul_f64 v[145:146], v[135:136], v[160:161]
	v_fma_f64 v[34:35], v[34:35], v[150:151], v[28:29]
	v_mul_f64 v[150:151], v[127:128], v[164:165]
	v_add_f64 v[160:161], v[111:112], v[101:102]
	v_fma_f64 v[164:165], v[174:175], -0.5, v[123:124]
	v_fma_f64 v[174:175], v[176:177], s[4:5], v[152:153]
	v_fma_f64 v[152:153], v[176:177], s[6:7], v[152:153]
	;; [unrolled: 1-line block ×3, first 2 shown]
	v_fma_f64 v[28:29], v[172:173], v[154:155], -v[26:27]
	s_waitcnt vmcnt(3)
	v_mul_f64 v[154:155], v[42:43], v[6:7]
	v_add_f64 v[123:124], v[123:124], v[186:187]
	v_add_f64 v[99:100], v[99:100], v[103:104]
	v_cndmask_b32_e64 v170, 0, 0x2580, s0
	v_fma_f64 v[24:25], v[135:136], v[158:159], v[143:144]
	v_fma_f64 v[26:27], v[137:138], v[158:159], -v[145:146]
	v_mul_f64 v[135:136], v[40:41], v[6:7]
	v_fma_f64 v[6:7], v[127:128], v[162:163], v[36:37]
	v_add_f64 v[127:128], v[166:167], v[107:108]
	v_add_f64 v[145:146], v[83:84], v[66:67]
	v_fma_f64 v[36:37], v[129:130], v[162:163], -v[150:151]
	v_fma_f64 v[137:138], v[156:157], -0.5, v[166:167]
	v_fma_f64 v[143:144], v[160:161], -0.5, v[168:169]
	v_mul_f64 v[113:114], v[174:175], s[6:7]
	v_fma_f64 v[150:151], v[178:179], s[6:7], v[164:165]
	v_mul_f64 v[156:157], v[174:175], 0.5
	v_add_f64 v[107:108], v[107:108], -v[105:106]
	v_add_f64 v[129:130], v[168:169], v[111:112]
	v_add_f64 v[111:112], v[111:112], -v[101:102]
	v_mul_f64 v[162:163], v[152:153], s[6:7]
	v_fma_f64 v[154:155], v[40:41], v[4:5], v[154:155]
	v_mul_f64 v[40:41], v[152:153], -0.5
	s_waitcnt vmcnt(1)
	v_mul_f64 v[152:153], v[18:19], v[10:11]
	v_mul_f64 v[158:159], v[133:134], v[2:3]
	v_mul_f64 v[2:3], v[131:132], v[2:3]
	v_fma_f64 v[160:161], v[178:179], s[4:5], v[164:165]
	v_mul_f64 v[10:11], v[16:17], v[10:11]
	s_waitcnt vmcnt(0) lgkmcnt(0)
	v_mul_f64 v[164:165], v[141:142], v[14:15]
	v_fma_f64 v[4:5], v[42:43], v[4:5], -v[135:136]
	v_mul_f64 v[14:15], v[139:140], v[14:15]
	v_add_f64 v[42:43], v[127:128], v[105:106]
	v_add_f64 v[105:106], v[123:124], v[109:110]
	;; [unrolled: 1-line block ×3, first 2 shown]
	v_add_f64 v[123:124], v[85:86], -v[75:76]
	v_fma_f64 v[127:128], v[145:146], -0.5, v[77:78]
	v_add_f64 v[168:169], v[79:80], -v[71:72]
	v_fma_f64 v[103:104], v[150:151], 0.5, v[113:114]
	v_fma_f64 v[113:114], v[150:151], s[4:5], v[156:157]
	v_fma_f64 v[135:136], v[107:108], s[4:5], v[143:144]
	v_add_f64 v[101:102], v[129:130], v[101:102]
	v_fma_f64 v[129:130], v[111:112], s[6:7], v[137:138]
	v_fma_f64 v[111:112], v[111:112], s[4:5], v[137:138]
	;; [unrolled: 1-line block ×3, first 2 shown]
	v_add_f64 v[156:157], v[79:80], v[71:72]
	v_fma_f64 v[145:146], v[16:17], v[8:9], v[152:153]
	v_add_f64 v[152:153], v[73:74], v[69:70]
	v_fma_f64 v[131:132], v[131:132], v[0:1], v[158:159]
	v_fma_f64 v[133:134], v[133:134], v[0:1], -v[2:3]
	ds_read_b128 v[0:3], v91
	v_fma_f64 v[137:138], v[160:161], -0.5, v[162:163]
	v_fma_f64 v[143:144], v[160:161], s[4:5], v[40:41]
	v_add_f64 v[160:161], v[83:84], -v[66:67]
	v_fma_f64 v[150:151], v[18:19], v[8:9], -v[10:11]
	v_fma_f64 v[139:140], v[139:140], v[12:13], v[164:165]
	v_fma_f64 v[109:110], v[109:110], -0.5, v[81:82]
	v_fma_f64 v[141:142], v[141:142], v[12:13], -v[14:15]
	v_fma_f64 v[158:159], v[123:124], s[4:5], v[127:128]
	v_add_f64 v[8:9], v[42:43], v[105:106]
	v_add_f64 v[12:13], v[42:43], -v[105:106]
	v_fma_f64 v[123:124], v[123:124], s[6:7], v[127:128]
	v_add_f64 v[18:19], v[135:136], v[113:114]
	v_add_f64 v[42:43], v[135:136], -v[113:114]
	v_add_f64 v[113:114], v[64:65], v[52:53]
	v_add_f64 v[16:17], v[129:130], v[103:104]
	v_add_f64 v[40:41], v[129:130], -v[103:104]
	ds_read_b128 v[103:106], v125
	v_add_f64 v[162:163], v[77:78], v[83:84]
	v_add_f64 v[135:136], v[81:82], v[85:86]
	s_waitcnt lgkmcnt(1)
	v_fma_f64 v[127:128], v[152:153], -0.5, v[0:1]
	v_add_f64 v[152:153], v[2:3], v[79:80]
	v_fma_f64 v[129:130], v[156:157], -0.5, v[2:3]
	v_add_f64 v[156:157], v[0:1], v[73:74]
	v_add_f64 v[10:11], v[101:102], v[99:100]
	v_add_f64 v[14:15], v[101:102], -v[99:100]
	v_add_f64 v[99:100], v[111:112], v[137:138]
	v_add_f64 v[101:102], v[107:108], v[143:144]
	v_fma_f64 v[166:167], v[160:161], s[6:7], v[109:110]
	v_add_f64 v[0:1], v[111:112], -v[137:138]
	v_mul_f64 v[164:165], v[158:159], s[6:7]
	v_mul_f64 v[158:159], v[158:159], 0.5
	v_add_f64 v[2:3], v[107:108], -v[143:144]
	v_add_f64 v[111:112], v[62:63], v[50:51]
	v_add_f64 v[73:74], v[73:74], -v[69:70]
	v_fma_f64 v[109:110], v[160:161], s[4:5], v[109:110]
	v_fma_f64 v[107:108], v[113:114], -0.5, v[58:59]
	v_add_f64 v[113:114], v[62:63], -v[50:51]
	v_mul_f64 v[137:138], v[123:124], s[6:7]
	v_mul_f64 v[123:124], v[123:124], -0.5
	v_add_f64 v[66:67], v[162:163], v[66:67]
	v_add_f64 v[75:76], v[135:136], v[75:76]
	;; [unrolled: 1-line block ×4, first 2 shown]
	v_add3_u32 v86, 0, v170, v120
	v_add_f64 v[69:70], v[156:157], v[69:70]
	v_lshl_add_u32 v81, v96, 4, 0
	v_fma_f64 v[152:153], v[168:169], s[6:7], v[127:128]
	v_fma_f64 v[127:128], v[168:169], s[4:5], v[127:128]
	ds_read_b128 v[77:80], v149
	ds_read_b128 v[82:85], v81
	s_waitcnt lgkmcnt(0)
	v_fma_f64 v[135:136], v[166:167], 0.5, v[164:165]
	v_fma_f64 v[143:144], v[166:167], s[4:5], v[158:159]
	v_add_f64 v[158:159], v[54:55], v[46:47]
	v_fma_f64 v[111:112], v[111:112], -0.5, v[56:57]
	v_add_f64 v[164:165], v[64:65], -v[52:53]
	v_fma_f64 v[156:157], v[73:74], s[4:5], v[129:130]
	v_fma_f64 v[73:74], v[73:74], s[6:7], v[129:130]
	;; [unrolled: 1-line block ×3, first 2 shown]
	v_fma_f64 v[129:130], v[109:110], -0.5, v[137:138]
	s_barrier
	buffer_gl0_inv
	ds_write_b128 v86, v[8:11]
	ds_write_b128 v86, v[16:19] offset:1600
	ds_write_b128 v86, v[99:102] offset:3200
	;; [unrolled: 1-line block ×3, first 2 shown]
	v_add_f64 v[10:11], v[71:72], v[66:67]
	v_add_f64 v[14:15], v[71:72], -v[66:67]
	v_fma_f64 v[66:67], v[113:114], s[6:7], v[107:108]
	v_fma_f64 v[109:110], v[109:110], s[4:5], v[123:124]
	v_add_f64 v[8:9], v[69:70], v[75:76]
	v_add_f64 v[12:13], v[69:70], -v[75:76]
	v_add_f64 v[75:76], v[103:104], v[54:55]
	v_add_f64 v[99:100], v[105:106], v[60:61]
	;; [unrolled: 1-line block ×3, first 2 shown]
	v_fma_f64 v[71:72], v[160:161], -0.5, v[105:106]
	v_add_f64 v[123:124], v[60:61], -v[48:49]
	v_fma_f64 v[69:70], v[158:159], -0.5, v[103:104]
	v_add_f64 v[103:104], v[58:59], v[64:65]
	v_fma_f64 v[107:108], v[164:165], s[6:7], v[111:112]
	v_add_f64 v[137:138], v[54:55], -v[46:47]
	v_mov_b32_e32 v62, 0x2580
	v_mul_f64 v[105:106], v[162:163], s[6:7]
	v_mul_f64 v[113:114], v[162:163], 0.5
	v_add_f64 v[16:17], v[152:153], v[135:136]
	v_add_f64 v[54:55], v[152:153], -v[135:136]
	v_add_f64 v[58:59], v[127:128], v[129:130]
	v_mul_u32_u24_sdwa v135, v121, v62 dst_sel:DWORD dst_unused:UNUSED_PAD src0_sel:WORD_0 src1_sel:DWORD
	v_add_f64 v[62:63], v[127:128], -v[129:130]
	v_add_f64 v[127:128], v[44:45], v[26:27]
	v_fma_f64 v[111:112], v[164:165], s[4:5], v[111:112]
	v_mul_f64 v[120:121], v[66:67], s[6:7]
	v_add_f64 v[18:19], v[156:157], v[143:144]
	v_add_f64 v[60:61], v[73:74], v[109:110]
	v_add_f64 v[56:57], v[156:157], -v[143:144]
	v_mul_f64 v[66:67], v[66:67], -0.5
	v_add_f64 v[46:47], v[75:76], v[46:47]
	v_add_f64 v[48:49], v[99:100], v[48:49]
	;; [unrolled: 1-line block ×3, first 2 shown]
	ds_write_b128 v86, v[40:43] offset:6400
	v_add_f64 v[52:53], v[103:104], v[52:53]
	v_add_f64 v[40:41], v[133:134], v[141:142]
	v_add_f64 v[64:65], v[73:74], -v[109:110]
	v_fma_f64 v[99:100], v[123:124], s[6:7], v[69:70]
	v_fma_f64 v[73:74], v[107:108], 0.5, v[105:106]
	v_fma_f64 v[75:76], v[107:108], s[4:5], v[113:114]
	v_fma_f64 v[101:102], v[137:138], s[4:5], v[71:72]
	v_add3_u32 v109, 0, v135, v122
	ds_write_b128 v86, v[0:3] offset:8000
	ds_write_b128 v109, v[8:11]
	ds_write_b128 v109, v[16:19] offset:1600
	ds_write_b128 v109, v[58:61] offset:3200
	v_fma_f64 v[60:61], v[137:138], s[6:7], v[71:72]
	v_fma_f64 v[71:72], v[127:128], -0.5, v[32:33]
	v_add_f64 v[103:104], v[34:35], v[24:25]
	v_add_f64 v[105:106], v[34:35], -v[24:25]
	v_fma_f64 v[58:59], v[123:124], s[4:5], v[69:70]
	v_fma_f64 v[69:70], v[111:112], -0.5, v[120:121]
	v_fma_f64 v[66:67], v[111:112], s[4:5], v[66:67]
	ds_write_b128 v109, v[12:15] offset:4800
	ds_write_b128 v109, v[54:57] offset:6400
	;; [unrolled: 1-line block ×3, first 2 shown]
	v_add_f64 v[0:1], v[46:47], v[50:51]
	v_add_f64 v[2:3], v[48:49], v[52:53]
	v_add_f64 v[10:11], v[48:49], -v[52:53]
	v_fma_f64 v[52:53], v[40:41], -0.5, v[36:37]
	v_add_f64 v[54:55], v[131:132], v[139:140]
	v_add_f64 v[56:57], v[131:132], -v[139:140]
	v_add_f64 v[12:13], v[99:100], v[73:74]
	v_add_f64 v[14:15], v[101:102], v[75:76]
	v_add_f64 v[8:9], v[46:47], -v[50:51]
	v_add_f64 v[50:51], v[20:21], v[38:39]
	v_add_f64 v[16:17], v[99:100], -v[73:74]
	;; [unrolled: 2-line block ×3, first 2 shown]
	v_add_f64 v[64:65], v[77:78], v[20:21]
	v_fma_f64 v[73:74], v[103:104], -0.5, v[30:31]
	v_fma_f64 v[75:76], v[105:106], s[4:5], v[71:72]
	v_add_f64 v[99:100], v[44:45], -v[26:27]
	v_add_f64 v[40:41], v[58:59], v[69:70]
	v_add_f64 v[46:47], v[58:59], -v[69:70]
	v_fma_f64 v[58:59], v[105:106], s[6:7], v[71:72]
	v_mul_u32_u24_e32 v48, 0x2580, v116
	v_lshlrev_b32_sdwa v49, v126, v117 dst_sel:DWORD dst_unused:UNUSED_PAD src0_sel:DWORD src1_sel:WORD_0
	v_add_f64 v[42:43], v[60:61], v[66:67]
	v_add_f64 v[30:31], v[30:31], v[34:35]
	;; [unrolled: 1-line block ×3, first 2 shown]
	v_add_f64 v[20:21], v[20:21], -v[38:39]
	v_add3_u32 v86, 0, v48, v49
	v_add_f64 v[48:49], v[60:61], -v[66:67]
	v_add_f64 v[60:61], v[154:155], v[145:146]
	v_add_f64 v[66:67], v[4:5], v[150:151]
	ds_write_b128 v86, v[0:3]
	ds_write_b128 v86, v[12:15] offset:1600
	v_fma_f64 v[2:3], v[54:55], -0.5, v[6:7]
	v_fma_f64 v[12:13], v[56:57], s[4:5], v[52:53]
	v_add_f64 v[14:15], v[133:134], -v[141:142]
	v_fma_f64 v[34:35], v[56:57], s[6:7], v[52:53]
	v_add_f64 v[54:55], v[79:80], v[22:23]
	v_fma_f64 v[0:1], v[50:51], -0.5, v[77:78]
	v_fma_f64 v[50:51], v[62:63], -0.5, v[79:80]
	v_add_f64 v[62:63], v[64:65], v[38:39]
	v_add_f64 v[22:23], v[22:23], -v[28:29]
	v_mul_f64 v[38:39], v[75:76], s[6:7]
	v_fma_f64 v[44:45], v[99:100], s[6:7], v[73:74]
	v_mul_f64 v[52:53], v[75:76], 0.5
	v_fma_f64 v[56:57], v[99:100], s[4:5], v[73:74]
	v_mul_f64 v[64:65], v[58:59], s[6:7]
	v_mul_f64 v[58:59], v[58:59], -0.5
	v_add_f64 v[69:70], v[82:83], v[154:155]
	v_add_f64 v[71:72], v[84:85], v[4:5]
	;; [unrolled: 1-line block ×4, first 2 shown]
	v_fma_f64 v[60:61], v[60:61], -0.5, v[82:83]
	v_fma_f64 v[66:67], v[66:67], -0.5, v[84:85]
	v_add_f64 v[4:5], v[4:5], -v[150:151]
	v_add_f64 v[77:78], v[154:155], -v[145:146]
	v_mul_f64 v[73:74], v[12:13], s[6:7]
	v_fma_f64 v[75:76], v[14:15], s[6:7], v[2:3]
	v_mul_f64 v[12:13], v[12:13], 0.5
	v_fma_f64 v[2:3], v[14:15], s[4:5], v[2:3]
	v_mul_f64 v[14:15], v[34:35], s[6:7]
	v_mul_f64 v[34:35], v[34:35], -0.5
	v_add_f64 v[28:29], v[54:55], v[28:29]
	v_add_f64 v[24:25], v[30:31], v[24:25]
	;; [unrolled: 1-line block ×3, first 2 shown]
	v_fma_f64 v[30:31], v[44:45], 0.5, v[38:39]
	v_fma_f64 v[32:33], v[44:45], s[4:5], v[52:53]
	v_fma_f64 v[38:39], v[22:23], s[6:7], v[0:1]
	;; [unrolled: 1-line block ×5, first 2 shown]
	v_fma_f64 v[54:55], v[56:57], -0.5, v[64:65]
	v_fma_f64 v[56:57], v[56:57], s[4:5], v[58:59]
	v_add_f64 v[58:59], v[69:70], v[145:146]
	v_add_f64 v[64:65], v[71:72], v[150:151]
	;; [unrolled: 1-line block ×4, first 2 shown]
	v_fma_f64 v[79:80], v[77:78], s[4:5], v[66:67]
	v_fma_f64 v[66:67], v[77:78], s[6:7], v[66:67]
	v_fma_f64 v[71:72], v[75:76], 0.5, v[73:74]
	v_fma_f64 v[73:74], v[75:76], s[4:5], v[12:13]
	v_fma_f64 v[75:76], v[4:5], s[6:7], v[60:61]
	;; [unrolled: 1-line block ×3, first 2 shown]
	v_fma_f64 v[77:78], v[2:3], -0.5, v[14:15]
	v_fma_f64 v[82:83], v[2:3], s[4:5], v[34:35]
	v_add_f64 v[0:1], v[62:63], v[24:25]
	v_add_f64 v[2:3], v[28:29], v[26:27]
	ds_write_b128 v86, v[40:43] offset:3200
	ds_write_b128 v86, v[8:11] offset:4800
	v_add_f64 v[4:5], v[62:63], -v[24:25]
	v_add_f64 v[8:9], v[38:39], v[30:31]
	v_add_f64 v[10:11], v[44:45], v[32:33]
	v_add_f64 v[6:7], v[28:29], -v[26:27]
	v_add_f64 v[12:13], v[38:39], -v[30:31]
	v_add_f64 v[20:21], v[52:53], v[54:55]
	v_add_f64 v[22:23], v[50:51], v[56:57]
	v_add_f64 v[14:15], v[44:45], -v[32:33]
	v_add_f64 v[24:25], v[52:53], -v[54:55]
	;; [unrolled: 1-line block ×3, first 2 shown]
	v_mul_u32_u24_e32 v44, 0x2580, v87
	v_lshlrev_b32_sdwa v45, v126, v115 dst_sel:DWORD dst_unused:UNUSED_PAD src0_sel:DWORD src1_sel:WORD_0
	v_add_f64 v[28:29], v[58:59], v[69:70]
	v_add_f64 v[30:31], v[64:65], v[36:37]
	v_add_f64 v[34:35], v[64:65], -v[36:37]
	v_add_f64 v[36:37], v[75:76], v[71:72]
	v_add_f64 v[38:39], v[79:80], v[73:74]
	ds_write_b128 v86, v[16:19] offset:6400
	ds_write_b128 v86, v[46:49] offset:8000
	v_add_f64 v[16:17], v[75:76], -v[71:72]
	v_add_f64 v[18:19], v[79:80], -v[73:74]
	v_add_f64 v[40:41], v[60:61], v[77:78]
	v_add_f64 v[42:43], v[66:67], v[82:83]
	v_add_f64 v[32:33], v[58:59], -v[69:70]
	v_add3_u32 v48, 0, v44, v45
	v_add_f64 v[44:45], v[60:61], -v[77:78]
	v_add_f64 v[46:47], v[66:67], -v[82:83]
	ds_write_b128 v48, v[0:3]
	ds_write_b128 v48, v[8:11] offset:1600
	ds_write_b128 v48, v[20:23] offset:3200
	v_mul_u32_u24_e32 v1, 5, v88
	v_mul_u32_u24_e32 v49, 0x2580, v118
	v_lshlrev_b32_sdwa v50, v126, v119 dst_sel:DWORD dst_unused:UNUSED_PAD src0_sel:DWORD src1_sel:WORD_0
	v_mul_i32_i24_e32 v67, 5, v90
	v_lshlrev_b32_e32 v1, 4, v1
	v_add3_u32 v0, 0, v49, v50
	ds_write_b128 v48, v[4:7] offset:4800
	ds_write_b128 v48, v[12:15] offset:6400
	;; [unrolled: 1-line block ×3, first 2 shown]
	ds_write_b128 v0, v[28:31]
	v_add_co_u32 v4, s0, s8, v1
	v_add_co_ci_u32_e64 v5, null, s9, 0, s0
	ds_write_b128 v0, v[36:39] offset:1600
	ds_write_b128 v0, v[40:43] offset:3200
	ds_write_b128 v0, v[32:35] offset:4800
	ds_write_b128 v0, v[16:19] offset:6400
	v_add_co_u32 v16, s0, 0x2000, v4
	v_add_co_ci_u32_e64 v17, s0, 0, v5, s0
	v_add_co_u32 v8, s0, 0x24e0, v4
	v_add_co_ci_u32_e64 v9, s0, 0, v5, s0
	ds_write_b128 v0, v[44:47] offset:8000
	s_waitcnt lgkmcnt(0)
	s_barrier
	buffer_gl0_inv
	s_clause 0x2
	global_load_dwordx4 v[0:3], v[16:17], off offset:1248
	global_load_dwordx4 v[12:15], v[8:9], off offset:16
	global_load_dwordx4 v[4:7], v[8:9], off offset:32
	v_lshlrev_b64 v[10:11], 4, v[67:68]
	v_mul_i32_i24_e32 v67, 5, v98
	v_add_co_u32 v18, s0, s8, v10
	v_add_co_ci_u32_e64 v19, s0, s9, v11, s0
	global_load_dwordx4 v[8:11], v[8:9], off offset:48
	v_add_co_u32 v28, s0, 0x2000, v18
	v_add_co_ci_u32_e64 v29, s0, 0, v19, s0
	s_clause 0x1
	global_load_dwordx4 v[24:27], v[16:17], off offset:1312
	global_load_dwordx4 v[20:23], v[28:29], off offset:1248
	v_add_co_u32 v30, s0, 0x24e0, v18
	v_add_co_ci_u32_e64 v31, s0, 0, v19, s0
	v_lshlrev_b64 v[40:41], 4, v[67:68]
	v_mul_i32_i24_e32 v67, 5, v97
	s_clause 0x3
	global_load_dwordx4 v[16:19], v[30:31], off offset:16
	global_load_dwordx4 v[36:39], v[30:31], off offset:32
	;; [unrolled: 1-line block ×4, first 2 shown]
	v_add_co_u32 v40, s0, s8, v40
	v_add_co_ci_u32_e64 v41, s0, s9, v41, s0
	v_lshlrev_b64 v[52:53], 4, v[67:68]
	v_add_co_u32 v48, s0, 0x2000, v40
	v_add_co_ci_u32_e64 v49, s0, 0, v41, s0
	v_add_co_u32 v50, s0, 0x24e0, v40
	v_add_co_ci_u32_e64 v51, s0, 0, v41, s0
	s_clause 0x3
	global_load_dwordx4 v[40:43], v[48:49], off offset:1248
	global_load_dwordx4 v[44:47], v[50:51], off offset:16
	;; [unrolled: 1-line block ×4, first 2 shown]
	v_add_co_u32 v50, s0, s8, v52
	v_add_co_ci_u32_e64 v51, s0, s9, v53, s0
	global_load_dwordx4 v[103:106], v[48:49], off offset:1312
	v_add_co_u32 v48, s0, 0x2000, v50
	v_add_co_ci_u32_e64 v49, s0, 0, v51, s0
	v_add_co_u32 v50, s0, 0x24e0, v50
	v_add_co_ci_u32_e64 v51, s0, 0, v51, s0
	v_mul_i32_i24_e32 v67, 5, v96
	s_clause 0x4
	global_load_dwordx4 v[107:110], v[48:49], off offset:1248
	global_load_dwordx4 v[111:114], v[50:51], off offset:16
	;; [unrolled: 1-line block ×5, first 2 shown]
	v_lshlrev_b64 v[52:53], 4, v[67:68]
	v_add_co_u32 v50, s0, s8, v52
	v_add_co_ci_u32_e64 v51, s0, s9, v53, s0
	v_add_co_u32 v48, s0, 0x2000, v50
	v_add_co_ci_u32_e64 v49, s0, 0, v51, s0
	;; [unrolled: 2-line block ×3, first 2 shown]
	s_clause 0x4
	global_load_dwordx4 v[130:133], v[48:49], off offset:1248
	global_load_dwordx4 v[134:137], v[50:51], off offset:16
	;; [unrolled: 1-line block ×5, first 2 shown]
	ds_read_b128 v[48:51], v147 offset:9600
	ds_read_b128 v[52:55], v147 offset:19200
	;; [unrolled: 1-line block ×4, first 2 shown]
	ds_read_b128 v[154:157], v147
	ds_read_b128 v[64:67], v147 offset:48000
	ds_read_b128 v[69:72], v147 offset:11520
	;; [unrolled: 1-line block ×5, first 2 shown]
	s_waitcnt vmcnt(24) lgkmcnt(9)
	v_mul_f64 v[73:74], v[50:51], v[2:3]
	v_mul_f64 v[2:3], v[48:49], v[2:3]
	s_waitcnt vmcnt(23) lgkmcnt(8)
	v_mul_f64 v[75:76], v[54:55], v[14:15]
	v_mul_f64 v[14:15], v[52:53], v[14:15]
	;; [unrolled: 3-line block ×5, first 2 shown]
	v_fma_f64 v[174:175], v[48:49], v[0:1], v[73:74]
	v_mul_f64 v[73:74], v[66:67], v[26:27]
	v_mul_f64 v[26:27], v[64:65], v[26:27]
	v_fma_f64 v[176:177], v[50:51], v[0:1], -v[2:3]
	ds_read_b128 v[0:3], v147 offset:30720
	ds_read_b128 v[166:169], v147 offset:46080
	;; [unrolled: 1-line block ×3, first 2 shown]
	v_fma_f64 v[178:179], v[52:53], v[12:13], v[75:76]
	v_fma_f64 v[180:181], v[54:55], v[12:13], -v[14:15]
	ds_read_b128 v[10:13], v147 offset:49920
	s_waitcnt vmcnt(18) lgkmcnt(6)
	v_mul_f64 v[14:15], v[79:80], v[18:19]
	v_mul_f64 v[52:53], v[77:78], v[18:19]
	v_fma_f64 v[86:87], v[56:57], v[4:5], v[86:87]
	v_fma_f64 v[123:124], v[60:61], v[8:9], v[123:124]
	v_fma_f64 v[184:185], v[62:63], v[8:9], -v[170:171]
	v_fma_f64 v[182:183], v[58:59], v[4:5], -v[6:7]
	ds_read_b128 v[4:7], v147 offset:23040
	ds_read_b128 v[56:59], v147 offset:32640
	s_waitcnt vmcnt(16) lgkmcnt(6)
	v_mul_f64 v[54:55], v[164:165], v[34:35]
	v_mul_f64 v[34:35], v[162:163], v[34:35]
	v_fma_f64 v[75:76], v[71:72], v[20:21], -v[22:23]
	s_waitcnt lgkmcnt(5)
	v_mul_f64 v[8:9], v[2:3], v[38:39]
	v_mul_f64 v[38:39], v[0:1], v[38:39]
	v_fma_f64 v[186:187], v[64:65], v[24:25], v[73:74]
	v_fma_f64 v[188:189], v[66:67], v[24:25], -v[26:27]
	ds_read_b128 v[22:25], v147 offset:42240
	s_waitcnt vmcnt(15) lgkmcnt(3)
	v_mul_f64 v[26:27], v[12:13], v[30:31]
	v_mul_f64 v[64:65], v[10:11], v[30:31]
	v_fma_f64 v[73:74], v[69:70], v[20:21], v[172:173]
	v_fma_f64 v[66:67], v[77:78], v[16:17], v[14:15]
	v_fma_f64 v[69:70], v[79:80], v[16:17], -v[52:53]
	s_waitcnt vmcnt(14)
	v_mul_f64 v[14:15], v[50:51], v[42:43]
	v_mul_f64 v[16:17], v[48:49], v[42:43]
	s_waitcnt vmcnt(13) lgkmcnt(2)
	v_mul_f64 v[42:43], v[6:7], v[46:47]
	v_mul_f64 v[46:47], v[4:5], v[46:47]
	ds_read_b128 v[18:21], v147 offset:51840
	ds_read_b128 v[170:173], v147 offset:24960
	v_fma_f64 v[60:61], v[162:163], v[32:33], v[54:55]
	v_fma_f64 v[62:63], v[164:165], v[32:33], -v[34:35]
	ds_read_b128 v[30:33], v147 offset:44160
	v_fma_f64 v[77:78], v[0:1], v[36:37], v[8:9]
	v_fma_f64 v[79:80], v[2:3], v[36:37], -v[38:39]
	ds_read_b128 v[0:3], v147 offset:15360
	s_waitcnt vmcnt(12) lgkmcnt(5)
	v_mul_f64 v[8:9], v[58:59], v[84:85]
	v_mul_f64 v[38:39], v[56:57], v[84:85]
	v_fma_f64 v[71:72], v[10:11], v[28:29], v[26:27]
	v_fma_f64 v[64:65], v[12:13], v[28:29], -v[64:65]
	ds_read_b128 v[26:29], v147 offset:34560
	s_waitcnt vmcnt(11) lgkmcnt(5)
	v_mul_f64 v[84:85], v[24:25], v[101:102]
	v_mul_f64 v[10:11], v[22:23], v[101:102]
	v_fma_f64 v[52:53], v[48:49], v[40:41], v[14:15]
	v_fma_f64 v[54:55], v[50:51], v[40:41], -v[16:17]
	s_waitcnt vmcnt(10) lgkmcnt(4)
	v_mul_f64 v[12:13], v[20:21], v[105:106]
	v_mul_f64 v[101:102], v[18:19], v[105:106]
	v_fma_f64 v[48:49], v[4:5], v[44:45], v[42:43]
	v_fma_f64 v[50:51], v[6:7], v[44:45], -v[46:47]
	v_add_f64 v[4:5], v[182:183], v[188:189]
	ds_read_b128 v[34:37], v147 offset:53760
	ds_read_b128 v[42:45], v147 offset:17280
	s_waitcnt vmcnt(6) lgkmcnt(4)
	v_mul_f64 v[46:47], v[30:31], v[121:122]
	s_waitcnt lgkmcnt(3)
	v_mul_f64 v[6:7], v[2:3], v[109:110]
	v_mul_f64 v[16:17], v[0:1], v[109:110]
	v_add_f64 v[109:110], v[86:87], v[186:187]
	v_fma_f64 v[56:57], v[56:57], v[82:83], v[8:9]
	v_fma_f64 v[58:59], v[58:59], v[82:83], -v[38:39]
	s_waitcnt lgkmcnt(2)
	v_mul_f64 v[40:41], v[26:27], v[117:118]
	v_fma_f64 v[8:9], v[22:23], v[99:100], v[84:85]
	v_mul_f64 v[22:23], v[172:173], v[113:114]
	v_fma_f64 v[10:11], v[24:25], v[99:100], -v[10:11]
	v_mul_f64 v[24:25], v[170:171], v[113:114]
	v_fma_f64 v[12:13], v[18:19], v[103:104], v[12:13]
	v_mul_f64 v[18:19], v[28:29], v[117:118]
	v_fma_f64 v[14:15], v[20:21], v[103:104], -v[101:102]
	v_mul_f64 v[20:21], v[32:33], v[121:122]
	s_waitcnt vmcnt(5) lgkmcnt(1)
	v_mul_f64 v[103:104], v[36:37], v[128:129]
	v_fma_f64 v[105:106], v[4:5], -0.5, v[176:177]
	v_add_f64 v[113:114], v[86:87], -v[186:187]
	s_waitcnt vmcnt(4) lgkmcnt(0)
	v_mul_f64 v[117:118], v[44:45], v[132:133]
	v_mul_f64 v[121:122], v[42:43], v[132:133]
	ds_read_b128 v[82:85], v147 offset:36480
	ds_read_b128 v[99:102], v147 offset:55680
	v_fma_f64 v[4:5], v[0:1], v[107:108], v[6:7]
	v_fma_f64 v[6:7], v[2:3], v[107:108], -v[16:17]
	v_mul_f64 v[107:108], v[34:35], v[128:129]
	v_add_f64 v[128:129], v[79:80], v[64:65]
	v_fma_f64 v[40:41], v[28:29], v[115:116], -v[40:41]
	s_waitcnt vmcnt(3)
	v_mul_f64 v[28:29], v[158:159], v[136:137]
	v_add_f64 v[132:133], v[154:155], v[178:179]
	v_add_f64 v[86:87], v[174:175], v[86:87]
	v_fma_f64 v[0:1], v[170:171], v[111:112], v[22:23]
	v_fma_f64 v[2:3], v[172:173], v[111:112], -v[24:25]
	v_mul_f64 v[111:112], v[160:161], v[136:137]
	v_fma_f64 v[38:39], v[26:27], v[115:116], v[18:19]
	v_fma_f64 v[18:19], v[32:33], v[119:120], -v[46:47]
	v_fma_f64 v[22:23], v[30:31], v[119:120], v[20:21]
	v_fma_f64 v[16:17], v[34:35], v[126:127], v[103:104]
	v_fma_f64 v[103:104], v[109:110], -0.5, v[174:175]
	v_fma_f64 v[34:35], v[113:114], s[4:5], v[105:106]
	s_waitcnt vmcnt(2) lgkmcnt(1)
	v_mul_f64 v[32:33], v[84:85], v[140:141]
	v_mul_f64 v[46:47], v[82:83], v[140:141]
	v_add_f64 v[109:110], v[182:183], -v[188:189]
	s_waitcnt vmcnt(1)
	v_mul_f64 v[115:116], v[168:169], v[144:145]
	v_fma_f64 v[24:25], v[42:43], v[130:131], v[117:118]
	s_waitcnt vmcnt(0) lgkmcnt(0)
	v_mul_f64 v[117:118], v[99:100], v[152:153]
	v_fma_f64 v[20:21], v[36:37], v[126:127], -v[107:108]
	v_mul_f64 v[36:37], v[166:167], v[144:145]
	v_mul_f64 v[107:108], v[101:102], v[152:153]
	v_add_f64 v[119:120], v[178:179], v[123:124]
	v_fma_f64 v[30:31], v[44:45], v[130:131], -v[121:122]
	v_add_f64 v[121:122], v[180:181], v[184:185]
	v_add_f64 v[126:127], v[77:78], v[71:72]
	v_fma_f64 v[105:106], v[113:114], s[6:7], v[105:106]
	v_fma_f64 v[42:43], v[160:161], v[134:135], -v[28:29]
	v_fma_f64 v[26:27], v[158:159], v[134:135], v[111:112]
	v_fma_f64 v[111:112], v[128:129], -0.5, v[75:76]
	v_add_f64 v[128:129], v[77:78], -v[71:72]
	v_add_f64 v[134:135], v[176:177], v[182:183]
	v_add_f64 v[140:141], v[79:80], -v[64:65]
	v_add_f64 v[130:131], v[156:157], v[180:181]
	v_mul_f64 v[136:137], v[34:35], s[6:7]
	v_fma_f64 v[44:45], v[82:83], v[138:139], v[32:33]
	v_fma_f64 v[46:47], v[84:85], v[138:139], -v[46:47]
	v_fma_f64 v[138:139], v[109:110], s[6:7], v[103:104]
	v_fma_f64 v[28:29], v[166:167], v[142:143], v[115:116]
	v_mul_f64 v[113:114], v[34:35], 0.5
	ds_read_b128 v[82:85], v91
	v_fma_f64 v[103:104], v[109:110], s[4:5], v[103:104]
	v_fma_f64 v[32:33], v[168:169], v[142:143], -v[36:37]
	v_fma_f64 v[34:35], v[99:100], v[150:151], v[107:108]
	v_fma_f64 v[36:37], v[101:102], v[150:151], -v[117:118]
	ds_read_b128 v[99:102], v125
	v_fma_f64 v[107:108], v[119:120], -0.5, v[154:155]
	v_fma_f64 v[115:116], v[121:122], -0.5, v[156:157]
	v_add_f64 v[117:118], v[66:67], v[60:61]
	v_add_f64 v[119:120], v[69:70], v[62:63]
	v_fma_f64 v[121:122], v[126:127], -0.5, v[73:74]
	v_add_f64 v[142:143], v[180:181], -v[184:185]
	v_fma_f64 v[126:127], v[128:129], s[4:5], v[111:112]
	v_fma_f64 v[111:112], v[128:129], s[6:7], v[111:112]
	v_add_f64 v[128:129], v[132:133], v[123:124]
	v_add_f64 v[123:124], v[178:179], -v[123:124]
	v_mul_f64 v[109:110], v[105:106], s[6:7]
	v_mul_f64 v[105:106], v[105:106], -0.5
	v_add_f64 v[144:145], v[58:59], v[14:15]
	v_add_f64 v[86:87], v[86:87], v[186:187]
	;; [unrolled: 1-line block ×3, first 2 shown]
	v_fma_f64 v[134:135], v[138:139], 0.5, v[136:137]
	v_fma_f64 v[113:114], v[138:139], s[4:5], v[113:114]
	s_waitcnt lgkmcnt(1)
	v_add_f64 v[136:137], v[82:83], v[66:67]
	v_add_f64 v[138:139], v[84:85], v[69:70]
	v_add_f64 v[69:70], v[69:70], -v[62:63]
	v_add_f64 v[77:78], v[73:74], v[77:78]
	v_add_f64 v[79:80], v[75:76], v[79:80]
	;; [unrolled: 1-line block ×3, first 2 shown]
	v_add_f64 v[66:67], v[66:67], -v[60:61]
	v_fma_f64 v[82:83], v[117:118], -0.5, v[82:83]
	v_fma_f64 v[84:85], v[119:120], -0.5, v[84:85]
	v_fma_f64 v[119:120], v[140:141], s[6:7], v[121:122]
	v_fma_f64 v[150:151], v[142:143], s[6:7], v[107:108]
	v_mul_f64 v[117:118], v[126:127], s[6:7]
	v_mul_f64 v[126:127], v[126:127], 0.5
	v_fma_f64 v[121:122], v[140:141], s[4:5], v[121:122]
	v_mul_f64 v[140:141], v[111:112], s[6:7]
	v_mul_f64 v[111:112], v[111:112], -0.5
	v_fma_f64 v[152:153], v[123:124], s[4:5], v[115:116]
	v_fma_f64 v[107:108], v[142:143], s[4:5], v[107:108]
	v_fma_f64 v[109:110], v[103:104], -0.5, v[109:110]
	v_fma_f64 v[103:104], v[103:104], s[4:5], v[105:106]
	v_fma_f64 v[142:143], v[144:145], -0.5, v[54:55]
	v_add_f64 v[105:106], v[56:57], v[12:13]
	v_add_f64 v[144:145], v[56:57], -v[12:13]
	v_add_f64 v[73:74], v[128:129], v[86:87]
	v_fma_f64 v[115:116], v[123:124], s[6:7], v[115:116]
	v_add_f64 v[123:124], v[136:137], v[60:61]
	v_add_f64 v[60:61], v[128:129], -v[86:87]
	v_add_f64 v[136:137], v[138:139], v[62:63]
	v_add_f64 v[138:139], v[77:78], v[71:72]
	;; [unrolled: 1-line block ×3, first 2 shown]
	v_fma_f64 v[128:129], v[69:70], s[4:5], v[82:83]
	v_add_f64 v[75:76], v[130:131], v[132:133]
	v_add_f64 v[64:65], v[150:151], v[134:135]
	v_fma_f64 v[86:87], v[119:120], 0.5, v[117:118]
	v_fma_f64 v[117:118], v[119:120], s[4:5], v[126:127]
	v_fma_f64 v[119:120], v[69:70], s[6:7], v[82:83]
	v_add_f64 v[69:70], v[150:151], -v[134:135]
	v_add_f64 v[134:135], v[48:49], v[8:9]
	v_add_f64 v[62:63], v[130:131], -v[132:133]
	v_fma_f64 v[126:127], v[66:67], s[4:5], v[84:85]
	v_fma_f64 v[130:131], v[66:67], s[6:7], v[84:85]
	v_fma_f64 v[132:133], v[121:122], -0.5, v[140:141]
	v_fma_f64 v[140:141], v[121:122], s[4:5], v[111:112]
	v_add_f64 v[66:67], v[152:153], v[113:114]
	v_add_f64 v[71:72], v[152:153], -v[113:114]
	v_add_f64 v[150:151], v[50:51], v[10:11]
	v_fma_f64 v[152:153], v[105:106], -0.5, v[52:53]
	v_fma_f64 v[156:157], v[144:145], s[4:5], v[142:143]
	v_add_f64 v[158:159], v[58:59], -v[14:15]
	v_add_f64 v[79:80], v[115:116], v[103:104]
	v_add_f64 v[84:85], v[115:116], -v[103:104]
	v_add_f64 v[77:78], v[107:108], v[109:110]
	;; [unrolled: 2-line block ×5, first 2 shown]
	v_add_f64 v[115:116], v[119:120], -v[86:87]
	v_fma_f64 v[86:87], v[144:145], s[6:7], v[142:143]
	s_waitcnt lgkmcnt(0)
	v_fma_f64 v[123:124], v[134:135], -0.5, v[99:100]
	v_add_f64 v[99:100], v[99:100], v[48:49]
	v_add_f64 v[142:143], v[40:41], v[20:21]
	;; [unrolled: 1-line block ×3, first 2 shown]
	v_add_f64 v[117:118], v[126:127], -v[117:118]
	v_add_f64 v[119:120], v[128:129], v[132:133]
	v_add_f64 v[121:122], v[130:131], v[140:141]
	v_add_f64 v[126:127], v[128:129], -v[132:133]
	v_add_f64 v[128:129], v[130:131], -v[140:141]
	v_fma_f64 v[130:131], v[150:151], -0.5, v[101:102]
	v_add_f64 v[101:102], v[101:102], v[50:51]
	v_add_f64 v[56:57], v[52:53], v[56:57]
	;; [unrolled: 1-line block ×3, first 2 shown]
	v_mul_f64 v[132:133], v[156:157], s[6:7]
	v_fma_f64 v[134:135], v[158:159], s[6:7], v[152:153]
	v_mul_f64 v[136:137], v[156:157], 0.5
	v_add_f64 v[138:139], v[50:51], -v[10:11]
	v_add_f64 v[140:141], v[48:49], -v[8:9]
	ds_read_b128 v[48:51], v149
	ds_read_b128 v[52:55], v81
	s_waitcnt lgkmcnt(0)
	s_barrier
	buffer_gl0_inv
	v_fma_f64 v[144:145], v[158:159], s[4:5], v[152:153]
	v_mul_f64 v[150:151], v[86:87], s[6:7]
	ds_write_b128 v147, v[73:76]
	ds_write_b128 v147, v[64:67] offset:9600
	v_add_f64 v[66:67], v[46:47], v[36:37]
	v_mul_f64 v[64:65], v[86:87], -0.5
	ds_write_b128 v147, v[77:80] offset:19200
	ds_write_b128 v147, v[60:63] offset:28800
	v_add_f64 v[60:61], v[99:100], v[8:9]
	v_fma_f64 v[79:80], v[142:143], -0.5, v[6:7]
	v_add_f64 v[86:87], v[38:39], v[16:17]
	v_add_f64 v[99:100], v[38:39], -v[16:17]
	v_add_f64 v[12:13], v[56:57], v[12:13]
	v_add_f64 v[56:57], v[101:102], v[10:11]
	;; [unrolled: 1-line block ×3, first 2 shown]
	v_fma_f64 v[62:63], v[134:135], 0.5, v[132:133]
	v_fma_f64 v[73:74], v[134:135], s[4:5], v[136:137]
	v_fma_f64 v[75:76], v[138:139], s[6:7], v[123:124]
	;; [unrolled: 1-line block ×3, first 2 shown]
	ds_write_b128 v147, v[69:72] offset:38400
	ds_write_b128 v147, v[82:85] offset:48000
	ds_write_b128 v91, v[103:106]
	v_fma_f64 v[69:70], v[138:139], s[4:5], v[123:124]
	ds_write_b128 v91, v[111:114] offset:9600
	v_add_f64 v[105:106], v[44:45], v[34:35]
	v_add_f64 v[111:112], v[44:45], -v[34:35]
	v_fma_f64 v[71:72], v[144:145], -0.5, v[150:151]
	v_add_f64 v[101:102], v[0:1], v[22:23]
	v_fma_f64 v[103:104], v[66:67], -0.5, v[30:31]
	v_add_f64 v[113:114], v[2:3], v[18:19]
	v_fma_f64 v[82:83], v[140:141], s[6:7], v[130:131]
	v_add_f64 v[123:124], v[48:49], v[0:1]
	v_add_f64 v[132:133], v[40:41], -v[20:21]
	v_fma_f64 v[84:85], v[144:145], s[4:5], v[64:65]
	v_fma_f64 v[86:87], v[86:87], -0.5, v[4:5]
	v_fma_f64 v[130:131], v[99:100], s[4:5], v[79:80]
	v_add_f64 v[8:9], v[60:61], v[12:13]
	v_add_f64 v[12:13], v[60:61], -v[12:13]
	v_add_f64 v[10:11], v[56:57], v[14:15]
	v_add_f64 v[14:15], v[56:57], -v[14:15]
	v_add_f64 v[4:5], v[4:5], v[38:39]
	v_add_f64 v[56:57], v[75:76], v[62:63]
	;; [unrolled: 1-line block ×3, first 2 shown]
	v_add_f64 v[60:61], v[75:76], -v[62:63]
	v_add_f64 v[62:63], v[77:78], -v[73:74]
	v_fma_f64 v[73:74], v[99:100], s[6:7], v[79:80]
	v_add_f64 v[75:76], v[26:27], v[28:29]
	v_add_f64 v[77:78], v[42:43], v[32:33]
	;; [unrolled: 1-line block ×3, first 2 shown]
	v_add_f64 v[69:70], v[69:70], -v[71:72]
	v_fma_f64 v[71:72], v[105:106], -0.5, v[24:25]
	v_fma_f64 v[79:80], v[111:112], s[4:5], v[103:104]
	v_add_f64 v[99:100], v[46:47], -v[36:37]
	v_fma_f64 v[48:49], v[101:102], -0.5, v[48:49]
	v_fma_f64 v[101:102], v[113:114], -0.5, v[50:51]
	v_add_f64 v[50:51], v[50:51], v[2:3]
	v_fma_f64 v[38:39], v[111:112], s[6:7], v[103:104]
	v_add_f64 v[6:7], v[6:7], v[40:41]
	v_add_f64 v[105:106], v[123:124], v[22:23]
	v_add_f64 v[2:3], v[2:3], -v[18:19]
	v_add_f64 v[0:1], v[0:1], -v[22:23]
	v_mul_f64 v[22:23], v[130:131], s[6:7]
	v_fma_f64 v[40:41], v[132:133], s[6:7], v[86:87]
	v_mul_f64 v[103:104], v[130:131], 0.5
	v_fma_f64 v[86:87], v[132:133], s[4:5], v[86:87]
	v_add_f64 v[24:25], v[24:25], v[44:45]
	v_add_f64 v[30:31], v[30:31], v[46:47]
	v_mul_f64 v[111:112], v[73:74], s[6:7]
	v_mul_f64 v[73:74], v[73:74], -0.5
	v_fma_f64 v[75:76], v[75:76], -0.5, v[52:53]
	v_fma_f64 v[77:78], v[77:78], -0.5, v[54:55]
	v_add_f64 v[52:53], v[52:53], v[26:27]
	v_add_f64 v[54:55], v[54:55], v[42:43]
	v_mul_f64 v[44:45], v[79:80], s[6:7]
	v_fma_f64 v[46:47], v[99:100], s[6:7], v[71:72]
	v_mul_f64 v[79:80], v[79:80], 0.5
	v_add_f64 v[42:43], v[42:43], -v[32:33]
	v_add_f64 v[26:27], v[26:27], -v[28:29]
	v_add_f64 v[18:19], v[50:51], v[18:19]
	v_fma_f64 v[50:51], v[99:100], s[4:5], v[71:72]
	v_mul_f64 v[71:72], v[38:39], s[6:7]
	v_mul_f64 v[38:39], v[38:39], -0.5
	v_add_f64 v[4:5], v[4:5], v[16:17]
	v_add_f64 v[6:7], v[6:7], v[20:21]
	v_fma_f64 v[20:21], v[40:41], 0.5, v[22:23]
	v_fma_f64 v[22:23], v[40:41], s[4:5], v[103:104]
	v_fma_f64 v[40:41], v[2:3], s[6:7], v[48:49]
	;; [unrolled: 1-line block ×5, first 2 shown]
	v_fma_f64 v[103:104], v[86:87], -0.5, v[111:112]
	v_fma_f64 v[73:74], v[86:87], s[4:5], v[73:74]
	v_add_f64 v[86:87], v[24:25], v[34:35]
	v_add_f64 v[52:53], v[52:53], v[28:29]
	;; [unrolled: 1-line block ×4, first 2 shown]
	v_fma_f64 v[44:45], v[46:47], 0.5, v[44:45]
	v_fma_f64 v[46:47], v[46:47], s[4:5], v[79:80]
	v_fma_f64 v[79:80], v[42:43], s[6:7], v[75:76]
	;; [unrolled: 1-line block ×5, first 2 shown]
	v_fma_f64 v[123:124], v[50:51], -0.5, v[71:72]
	v_fma_f64 v[130:131], v[50:51], s[4:5], v[38:39]
	v_add_f64 v[66:67], v[82:83], v[84:85]
	v_add_f64 v[71:72], v[82:83], -v[84:85]
	v_add_f64 v[0:1], v[105:106], v[4:5]
	v_add_f64 v[2:3], v[18:19], v[6:7]
	v_add_f64 v[6:7], v[18:19], -v[6:7]
	v_add_f64 v[16:17], v[40:41], v[20:21]
	;; [unrolled: 3-line block ×3, first 2 shown]
	v_add_f64 v[26:27], v[101:102], v[73:74]
	v_add_f64 v[20:21], v[40:41], -v[20:21]
	v_add_f64 v[22:23], v[99:100], -v[22:23]
	v_add_f64 v[28:29], v[48:49], -v[103:104]
	v_add_f64 v[30:31], v[101:102], -v[73:74]
	v_add_f64 v[32:33], v[52:53], v[86:87]
	v_add_f64 v[34:35], v[54:55], v[111:112]
	;; [unrolled: 1-line block ×4, first 2 shown]
	v_add_f64 v[36:37], v[52:53], -v[86:87]
	v_add_f64 v[38:39], v[54:55], -v[111:112]
	v_add_f64 v[48:49], v[75:76], v[123:124]
	v_add_f64 v[50:51], v[77:78], v[130:131]
	v_add_f64 v[44:45], v[79:80], -v[44:45]
	v_add_f64 v[46:47], v[113:114], -v[46:47]
	;; [unrolled: 1-line block ×4, first 2 shown]
	ds_write_b128 v91, v[119:122] offset:19200
	ds_write_b128 v91, v[107:110] offset:28800
	ds_write_b128 v91, v[115:118] offset:38400
	ds_write_b128 v91, v[126:129] offset:48000
	ds_write_b128 v125, v[8:11]
	ds_write_b128 v125, v[56:59] offset:9600
	ds_write_b128 v125, v[64:67] offset:19200
	ds_write_b128 v125, v[12:15] offset:28800
	ds_write_b128 v125, v[60:63] offset:38400
	ds_write_b128 v125, v[69:72] offset:48000
	ds_write_b128 v149, v[0:3]
	ds_write_b128 v149, v[16:19] offset:9600
	;; [unrolled: 6-line block ×3, first 2 shown]
	ds_write_b128 v81, v[48:51] offset:19200
	ds_write_b128 v81, v[36:39] offset:28800
	;; [unrolled: 1-line block ×4, first 2 shown]
	s_waitcnt lgkmcnt(0)
	s_barrier
	buffer_gl0_inv
	ds_read_b128 v[4:7], v147
	v_sub_nc_u32_e32 v10, 0, v89
	s_addc_u32 s4, s9, 0
	s_mov_b32 s5, exec_lo
                                        ; implicit-def: $vgpr2_vgpr3
                                        ; implicit-def: $vgpr8_vgpr9
	v_cmpx_ne_u32_e32 0, v88
	s_xor_b32 s5, exec_lo, s5
	s_cbranch_execz .LBB0_15
; %bb.14:
	v_mov_b32_e32 v89, v68
	v_lshlrev_b64 v[0:1], 4, v[88:89]
	v_add_co_u32 v0, s0, s1, v0
	v_add_co_ci_u32_e64 v1, s0, s4, v1, s0
	global_load_dwordx4 v[11:14], v[0:1], off
	ds_read_b128 v[0:3], v10 offset:57600
	s_waitcnt lgkmcnt(0)
	v_add_f64 v[8:9], v[4:5], -v[0:1]
	v_add_f64 v[15:16], v[6:7], v[2:3]
	v_add_f64 v[2:3], v[6:7], -v[2:3]
	v_add_f64 v[0:1], v[4:5], v[0:1]
	v_mul_f64 v[6:7], v[8:9], 0.5
	v_mul_f64 v[4:5], v[15:16], 0.5
	;; [unrolled: 1-line block ×3, first 2 shown]
	s_waitcnt vmcnt(0)
	v_mul_f64 v[8:9], v[6:7], v[13:14]
	v_fma_f64 v[15:16], v[4:5], v[13:14], v[2:3]
	v_fma_f64 v[2:3], v[4:5], v[13:14], -v[2:3]
	v_fma_f64 v[17:18], v[0:1], 0.5, v[8:9]
	v_fma_f64 v[0:1], v[0:1], 0.5, -v[8:9]
	v_fma_f64 v[8:9], -v[11:12], v[6:7], v[15:16]
	v_fma_f64 v[2:3], -v[11:12], v[6:7], v[2:3]
	v_fma_f64 v[13:14], v[4:5], v[11:12], v[17:18]
	v_fma_f64 v[0:1], -v[4:5], v[11:12], v[0:1]
                                        ; implicit-def: $vgpr4_vgpr5
	ds_write_b64 v147, v[13:14]
.LBB0_15:
	s_or_saveexec_b32 s0, s5
	v_mul_i32_i24_e32 v12, 0xffffff70, v90
	v_mul_i32_i24_e32 v11, 0xffffff70, v98
	s_xor_b32 exec_lo, exec_lo, s0
	s_cbranch_execz .LBB0_17
; %bb.16:
	v_mov_b32_e32 v17, 0
	s_waitcnt lgkmcnt(0)
	v_add_f64 v[15:16], v[4:5], v[6:7]
	v_add_f64 v[0:1], v[4:5], -v[6:7]
	v_mov_b32_e32 v8, 0
	v_mov_b32_e32 v9, 0
	ds_read_b64 v[13:14], v17 offset:28808
	v_mov_b32_e32 v2, v8
	v_mov_b32_e32 v3, v9
	s_waitcnt lgkmcnt(0)
	v_xor_b32_e32 v14, 0x80000000, v14
	ds_write_b64 v147, v[15:16]
	ds_write_b64 v17, v[13:14] offset:28808
.LBB0_17:
	s_or_b32 exec_lo, exec_lo, s0
	v_mov_b32_e32 v91, 0
	ds_write_b64 v147, v[8:9] offset:8
	v_add_nc_u32_e32 v12, v93, v12
	ds_write_b128 v10, v[0:3] offset:57600
	s_waitcnt lgkmcnt(2)
	v_lshlrev_b64 v[4:5], 4, v[90:91]
	v_mov_b32_e32 v99, v91
	v_add_nc_u32_e32 v90, 0x258, v88
	v_lshlrev_b64 v[13:14], 4, v[98:99]
	v_add_co_u32 v4, s0, s1, v4
	v_add_co_ci_u32_e64 v5, s0, s4, v5, s0
	v_mov_b32_e32 v98, v91
	v_add_co_u32 v13, s0, s1, v13
	global_load_dwordx4 v[4:7], v[4:5], off
	v_add_co_ci_u32_e64 v14, s0, s4, v14, s0
	v_lshlrev_b64 v[8:9], 4, v[97:98]
	v_mov_b32_e32 v97, v91
	global_load_dwordx4 v[13:16], v[13:14], off
	ds_read_b128 v[0:3], v12
	ds_read_b128 v[17:20], v10 offset:55680
	v_add_co_u32 v8, s0, s1, v8
	v_add_co_ci_u32_e64 v9, s0, s4, v9, s0
	global_load_dwordx4 v[21:24], v[8:9], off
	s_waitcnt lgkmcnt(0)
	v_add_f64 v[8:9], v[0:1], -v[17:18]
	v_add_f64 v[25:26], v[2:3], v[19:20]
	v_add_f64 v[2:3], v[2:3], -v[19:20]
	v_add_f64 v[0:1], v[0:1], v[17:18]
	v_mul_f64 v[8:9], v[8:9], 0.5
	v_mul_f64 v[19:20], v[25:26], 0.5
	;; [unrolled: 1-line block ×3, first 2 shown]
	s_waitcnt vmcnt(2)
	v_mul_f64 v[17:18], v[8:9], v[6:7]
	v_fma_f64 v[25:26], v[19:20], v[6:7], v[2:3]
	v_fma_f64 v[6:7], v[19:20], v[6:7], -v[2:3]
	v_fma_f64 v[27:28], v[0:1], 0.5, v[17:18]
	v_fma_f64 v[17:18], v[0:1], 0.5, -v[17:18]
	v_fma_f64 v[2:3], -v[4:5], v[8:9], v[25:26]
	v_fma_f64 v[6:7], -v[4:5], v[8:9], v[6:7]
	v_lshlrev_b64 v[8:9], 4, v[96:97]
	v_add_co_u32 v8, s0, s1, v8
	v_add_co_ci_u32_e64 v9, s0, s4, v9, s0
	v_fma_f64 v[0:1], v[19:20], v[4:5], v[27:28]
	v_fma_f64 v[4:5], -v[19:20], v[4:5], v[17:18]
	v_add_nc_u32_e32 v27, v148, v11
	ds_write_b128 v12, v[0:3]
	ds_write_b128 v10, v[4:7] offset:55680
	ds_read_b128 v[0:3], v27
	ds_read_b128 v[4:7], v10 offset:53760
	global_load_dwordx4 v[17:20], v[8:9], off
	s_waitcnt lgkmcnt(0)
	v_add_f64 v[8:9], v[0:1], -v[4:5]
	v_add_f64 v[11:12], v[2:3], v[6:7]
	v_add_f64 v[2:3], v[2:3], -v[6:7]
	v_add_f64 v[0:1], v[0:1], v[4:5]
	v_mul_f64 v[6:7], v[8:9], 0.5
	v_mul_f64 v[8:9], v[11:12], 0.5
	;; [unrolled: 1-line block ×3, first 2 shown]
	s_waitcnt vmcnt(2)
	v_mul_f64 v[4:5], v[6:7], v[15:16]
	v_fma_f64 v[11:12], v[8:9], v[15:16], v[2:3]
	v_fma_f64 v[15:16], v[8:9], v[15:16], -v[2:3]
	v_fma_f64 v[25:26], v[0:1], 0.5, v[4:5]
	v_fma_f64 v[4:5], v[0:1], 0.5, -v[4:5]
	v_fma_f64 v[2:3], -v[13:14], v[6:7], v[11:12]
	v_fma_f64 v[6:7], -v[13:14], v[6:7], v[15:16]
	v_fma_f64 v[0:1], v[8:9], v[13:14], v[25:26]
	v_fma_f64 v[4:5], -v[8:9], v[13:14], v[4:5]
	v_lshlrev_b64 v[8:9], 4, v[90:91]
	v_add_nc_u32_e32 v90, 0x2d0, v88
	ds_write_b128 v27, v[0:3]
	ds_write_b128 v10, v[4:7] offset:53760
	v_add_co_u32 v8, s0, s1, v8
	ds_read_b128 v[0:3], v149
	ds_read_b128 v[4:7], v10 offset:51840
	v_add_co_ci_u32_e64 v9, s0, s4, v9, s0
	global_load_dwordx4 v[11:14], v[8:9], off
	s_waitcnt lgkmcnt(0)
	v_add_f64 v[8:9], v[0:1], -v[4:5]
	v_add_f64 v[15:16], v[2:3], v[6:7]
	v_add_f64 v[2:3], v[2:3], -v[6:7]
	v_add_f64 v[0:1], v[0:1], v[4:5]
	v_mul_f64 v[6:7], v[8:9], 0.5
	v_mul_f64 v[8:9], v[15:16], 0.5
	;; [unrolled: 1-line block ×3, first 2 shown]
	s_waitcnt vmcnt(2)
	v_mul_f64 v[4:5], v[6:7], v[23:24]
	v_fma_f64 v[15:16], v[8:9], v[23:24], v[2:3]
	v_fma_f64 v[23:24], v[8:9], v[23:24], -v[2:3]
	v_fma_f64 v[25:26], v[0:1], 0.5, v[4:5]
	v_fma_f64 v[4:5], v[0:1], 0.5, -v[4:5]
	v_fma_f64 v[2:3], -v[21:22], v[6:7], v[15:16]
	v_fma_f64 v[6:7], -v[21:22], v[6:7], v[23:24]
	v_fma_f64 v[0:1], v[8:9], v[21:22], v[25:26]
	v_fma_f64 v[4:5], -v[8:9], v[21:22], v[4:5]
	v_lshlrev_b64 v[8:9], 4, v[90:91]
	v_add_nc_u32_e32 v90, 0x348, v88
	ds_write_b128 v149, v[0:3]
	ds_write_b128 v10, v[4:7] offset:51840
	v_add_co_u32 v8, s0, s1, v8
	ds_read_b128 v[0:3], v81
	ds_read_b128 v[4:7], v10 offset:49920
	v_add_co_ci_u32_e64 v9, s0, s4, v9, s0
	global_load_dwordx4 v[21:24], v[8:9], off
	s_waitcnt lgkmcnt(0)
	v_add_f64 v[8:9], v[0:1], -v[4:5]
	v_add_f64 v[15:16], v[2:3], v[6:7]
	v_add_f64 v[2:3], v[2:3], -v[6:7]
	v_add_f64 v[0:1], v[0:1], v[4:5]
	v_mul_f64 v[6:7], v[8:9], 0.5
	v_mul_f64 v[8:9], v[15:16], 0.5
	;; [unrolled: 1-line block ×3, first 2 shown]
	s_waitcnt vmcnt(2)
	v_mul_f64 v[4:5], v[6:7], v[19:20]
	v_fma_f64 v[15:16], v[8:9], v[19:20], v[2:3]
	v_fma_f64 v[19:20], v[8:9], v[19:20], -v[2:3]
	v_fma_f64 v[25:26], v[0:1], 0.5, v[4:5]
	v_fma_f64 v[4:5], v[0:1], 0.5, -v[4:5]
	v_fma_f64 v[2:3], -v[17:18], v[6:7], v[15:16]
	v_fma_f64 v[6:7], -v[17:18], v[6:7], v[19:20]
	v_fma_f64 v[0:1], v[8:9], v[17:18], v[25:26]
	v_fma_f64 v[4:5], -v[8:9], v[17:18], v[4:5]
	v_lshlrev_b64 v[8:9], 4, v[90:91]
	v_add_nc_u32_e32 v90, 0x3c0, v88
	ds_write_b128 v81, v[0:3]
	ds_write_b128 v10, v[4:7] offset:49920
	v_add_co_u32 v8, s0, s1, v8
	ds_read_b128 v[0:3], v147 offset:9600
	ds_read_b128 v[4:7], v10 offset:48000
	v_add_co_ci_u32_e64 v9, s0, s4, v9, s0
	global_load_dwordx4 v[15:18], v[8:9], off
	s_waitcnt lgkmcnt(0)
	v_add_f64 v[8:9], v[0:1], -v[4:5]
	v_add_f64 v[19:20], v[2:3], v[6:7]
	v_add_f64 v[2:3], v[2:3], -v[6:7]
	v_add_f64 v[0:1], v[0:1], v[4:5]
	v_mul_f64 v[6:7], v[8:9], 0.5
	v_mul_f64 v[8:9], v[19:20], 0.5
	v_mul_f64 v[2:3], v[2:3], 0.5
	s_waitcnt vmcnt(2)
	v_mul_f64 v[4:5], v[6:7], v[13:14]
	v_fma_f64 v[19:20], v[8:9], v[13:14], v[2:3]
	v_fma_f64 v[13:14], v[8:9], v[13:14], -v[2:3]
	v_fma_f64 v[25:26], v[0:1], 0.5, v[4:5]
	v_fma_f64 v[4:5], v[0:1], 0.5, -v[4:5]
	v_fma_f64 v[2:3], -v[11:12], v[6:7], v[19:20]
	v_fma_f64 v[6:7], -v[11:12], v[6:7], v[13:14]
	v_fma_f64 v[0:1], v[8:9], v[11:12], v[25:26]
	v_fma_f64 v[4:5], -v[8:9], v[11:12], v[4:5]
	v_lshlrev_b64 v[8:9], 4, v[90:91]
	v_add_nc_u32_e32 v90, 0x438, v88
	ds_write_b128 v147, v[0:3] offset:9600
	ds_write_b128 v10, v[4:7] offset:48000
	v_add_co_u32 v8, s0, s1, v8
	ds_read_b128 v[0:3], v147 offset:11520
	ds_read_b128 v[4:7], v10 offset:46080
	v_add_co_ci_u32_e64 v9, s0, s4, v9, s0
	global_load_dwordx4 v[11:14], v[8:9], off
	s_waitcnt lgkmcnt(0)
	v_add_f64 v[8:9], v[0:1], -v[4:5]
	v_add_f64 v[19:20], v[2:3], v[6:7]
	v_add_f64 v[2:3], v[2:3], -v[6:7]
	v_add_f64 v[0:1], v[0:1], v[4:5]
	v_mul_f64 v[6:7], v[8:9], 0.5
	v_mul_f64 v[8:9], v[19:20], 0.5
	v_mul_f64 v[2:3], v[2:3], 0.5
	s_waitcnt vmcnt(2)
	v_mul_f64 v[4:5], v[6:7], v[23:24]
	v_fma_f64 v[19:20], v[8:9], v[23:24], v[2:3]
	v_fma_f64 v[23:24], v[8:9], v[23:24], -v[2:3]
	v_fma_f64 v[25:26], v[0:1], 0.5, v[4:5]
	v_fma_f64 v[4:5], v[0:1], 0.5, -v[4:5]
	v_fma_f64 v[2:3], -v[21:22], v[6:7], v[19:20]
	v_fma_f64 v[6:7], -v[21:22], v[6:7], v[23:24]
	v_fma_f64 v[0:1], v[8:9], v[21:22], v[25:26]
	v_fma_f64 v[4:5], -v[8:9], v[21:22], v[4:5]
	v_lshlrev_b64 v[8:9], 4, v[90:91]
	v_add_nc_u32_e32 v90, 0x4b0, v88
	ds_write_b128 v147, v[0:3] offset:11520
	;; [unrolled: 27-line block ×6, first 2 shown]
	ds_write_b128 v10, v[4:7] offset:38400
	v_add_co_u32 v8, s0, s1, v8
	ds_read_b128 v[0:3], v147 offset:21120
	ds_read_b128 v[4:7], v10 offset:36480
	v_add_co_ci_u32_e64 v9, s0, s4, v9, s0
	global_load_dwordx4 v[15:18], v[8:9], off
	s_waitcnt lgkmcnt(0)
	v_add_f64 v[8:9], v[0:1], -v[4:5]
	v_add_f64 v[23:24], v[2:3], v[6:7]
	v_add_f64 v[2:3], v[2:3], -v[6:7]
	v_add_f64 v[0:1], v[0:1], v[4:5]
	v_mul_f64 v[6:7], v[8:9], 0.5
	v_mul_f64 v[8:9], v[23:24], 0.5
	;; [unrolled: 1-line block ×3, first 2 shown]
	s_waitcnt vmcnt(2)
	v_mul_f64 v[4:5], v[6:7], v[13:14]
	v_fma_f64 v[23:24], v[8:9], v[13:14], v[2:3]
	v_fma_f64 v[13:14], v[8:9], v[13:14], -v[2:3]
	v_fma_f64 v[25:26], v[0:1], 0.5, v[4:5]
	v_fma_f64 v[4:5], v[0:1], 0.5, -v[4:5]
	v_fma_f64 v[2:3], -v[11:12], v[6:7], v[23:24]
	v_fma_f64 v[6:7], -v[11:12], v[6:7], v[13:14]
	v_fma_f64 v[0:1], v[8:9], v[11:12], v[25:26]
	v_fma_f64 v[4:5], -v[8:9], v[11:12], v[4:5]
	v_lshlrev_b64 v[8:9], 4, v[90:91]
	ds_write_b128 v147, v[0:3] offset:21120
	ds_write_b128 v10, v[4:7] offset:36480
	v_add_co_u32 v8, s0, s1, v8
	ds_read_b128 v[0:3], v147 offset:23040
	ds_read_b128 v[4:7], v10 offset:34560
	v_add_co_ci_u32_e64 v9, s0, s4, v9, s0
	global_load_dwordx4 v[11:14], v[8:9], off
	s_waitcnt lgkmcnt(0)
	v_add_f64 v[8:9], v[0:1], -v[4:5]
	v_add_f64 v[23:24], v[2:3], v[6:7]
	v_add_f64 v[2:3], v[2:3], -v[6:7]
	v_add_f64 v[0:1], v[0:1], v[4:5]
	v_mul_f64 v[6:7], v[8:9], 0.5
	v_mul_f64 v[8:9], v[23:24], 0.5
	;; [unrolled: 1-line block ×3, first 2 shown]
	s_waitcnt vmcnt(2)
	v_mul_f64 v[4:5], v[6:7], v[21:22]
	v_fma_f64 v[23:24], v[8:9], v[21:22], v[2:3]
	v_fma_f64 v[21:22], v[8:9], v[21:22], -v[2:3]
	v_fma_f64 v[25:26], v[0:1], 0.5, v[4:5]
	v_fma_f64 v[4:5], v[0:1], 0.5, -v[4:5]
	v_fma_f64 v[2:3], -v[19:20], v[6:7], v[23:24]
	v_fma_f64 v[6:7], -v[19:20], v[6:7], v[21:22]
	v_fma_f64 v[0:1], v[8:9], v[19:20], v[25:26]
	v_fma_f64 v[4:5], -v[8:9], v[19:20], v[4:5]
	ds_write_b128 v147, v[0:3] offset:23040
	ds_write_b128 v10, v[4:7] offset:34560
	ds_read_b128 v[0:3], v147 offset:24960
	ds_read_b128 v[4:7], v10 offset:32640
	s_waitcnt lgkmcnt(0)
	v_add_f64 v[8:9], v[0:1], -v[4:5]
	v_add_f64 v[19:20], v[2:3], v[6:7]
	v_add_f64 v[2:3], v[2:3], -v[6:7]
	v_add_f64 v[0:1], v[0:1], v[4:5]
	v_mul_f64 v[6:7], v[8:9], 0.5
	v_mul_f64 v[8:9], v[19:20], 0.5
	;; [unrolled: 1-line block ×3, first 2 shown]
	s_waitcnt vmcnt(1)
	v_mul_f64 v[4:5], v[6:7], v[17:18]
	v_fma_f64 v[19:20], v[8:9], v[17:18], v[2:3]
	v_fma_f64 v[17:18], v[8:9], v[17:18], -v[2:3]
	v_fma_f64 v[21:22], v[0:1], 0.5, v[4:5]
	v_fma_f64 v[4:5], v[0:1], 0.5, -v[4:5]
	v_fma_f64 v[2:3], -v[15:16], v[6:7], v[19:20]
	v_fma_f64 v[6:7], -v[15:16], v[6:7], v[17:18]
	v_fma_f64 v[0:1], v[8:9], v[15:16], v[21:22]
	v_fma_f64 v[4:5], -v[8:9], v[15:16], v[4:5]
	ds_write_b128 v147, v[0:3] offset:24960
	ds_write_b128 v10, v[4:7] offset:32640
	ds_read_b128 v[0:3], v147 offset:26880
	ds_read_b128 v[4:7], v10 offset:30720
	s_waitcnt lgkmcnt(0)
	v_add_f64 v[8:9], v[0:1], -v[4:5]
	v_add_f64 v[15:16], v[2:3], v[6:7]
	v_add_f64 v[2:3], v[2:3], -v[6:7]
	v_add_f64 v[0:1], v[0:1], v[4:5]
	v_mul_f64 v[6:7], v[8:9], 0.5
	v_mul_f64 v[8:9], v[15:16], 0.5
	;; [unrolled: 1-line block ×3, first 2 shown]
	s_waitcnt vmcnt(0)
	v_mul_f64 v[4:5], v[6:7], v[13:14]
	v_fma_f64 v[15:16], v[8:9], v[13:14], v[2:3]
	v_fma_f64 v[13:14], v[8:9], v[13:14], -v[2:3]
	v_fma_f64 v[17:18], v[0:1], 0.5, v[4:5]
	v_fma_f64 v[4:5], v[0:1], 0.5, -v[4:5]
	v_fma_f64 v[2:3], -v[11:12], v[6:7], v[15:16]
	v_fma_f64 v[6:7], -v[11:12], v[6:7], v[13:14]
	v_fma_f64 v[0:1], v[8:9], v[11:12], v[17:18]
	v_fma_f64 v[4:5], -v[8:9], v[11:12], v[4:5]
	ds_write_b128 v147, v[0:3] offset:26880
	ds_write_b128 v10, v[4:7] offset:30720
	s_waitcnt lgkmcnt(0)
	s_barrier
	buffer_gl0_inv
	s_and_saveexec_b32 s0, vcc_lo
	s_cbranch_execz .LBB0_20
; %bb.18:
	ds_read_b128 v[2:5], v147
	v_mov_b32_e32 v89, v91
	v_add_co_u32 v0, vcc_lo, s2, v94
	v_add_co_ci_u32_e32 v1, vcc_lo, s3, v95, vcc_lo
	v_lshlrev_b64 v[22:23], 4, v[88:89]
	ds_read_b128 v[6:9], v147 offset:1920
	ds_read_b128 v[10:13], v147 offset:3840
	;; [unrolled: 1-line block ×4, first 2 shown]
	v_mov_b32_e32 v93, v91
	v_add_co_u32 v22, vcc_lo, v0, v22
	v_add_co_ci_u32_e32 v23, vcc_lo, v1, v23, vcc_lo
	v_add_co_u32 v24, vcc_lo, 0x800, v22
	v_add_co_ci_u32_e32 v25, vcc_lo, 0, v23, vcc_lo
	s_waitcnt lgkmcnt(4)
	global_store_dwordx4 v[22:23], v[2:5], off
	v_add_co_u32 v2, vcc_lo, 0x1000, v22
	v_add_co_ci_u32_e32 v3, vcc_lo, 0, v23, vcc_lo
	v_add_co_u32 v26, vcc_lo, 0x1800, v22
	v_add_co_ci_u32_e32 v27, vcc_lo, 0, v23, vcc_lo
	s_waitcnt lgkmcnt(3)
	global_store_dwordx4 v[22:23], v[6:9], off offset:1920
	s_waitcnt lgkmcnt(2)
	global_store_dwordx4 v[24:25], v[10:13], off offset:1792
	;; [unrolled: 2-line block ×3, first 2 shown]
	ds_read_b128 v[2:5], v147 offset:9600
	s_waitcnt lgkmcnt(1)
	global_store_dwordx4 v[26:27], v[18:21], off offset:1536
	ds_read_b128 v[6:9], v147 offset:11520
	ds_read_b128 v[10:13], v147 offset:13440
	;; [unrolled: 1-line block ×3, first 2 shown]
	v_add_co_u32 v18, vcc_lo, 0x2000, v22
	v_add_co_ci_u32_e32 v19, vcc_lo, 0, v23, vcc_lo
	v_add_co_u32 v20, vcc_lo, 0x2800, v22
	v_add_co_ci_u32_e32 v21, vcc_lo, 0, v23, vcc_lo
	;; [unrolled: 2-line block ×4, first 2 shown]
	s_waitcnt lgkmcnt(3)
	global_store_dwordx4 v[18:19], v[2:5], off offset:1408
	s_waitcnt lgkmcnt(2)
	global_store_dwordx4 v[20:21], v[6:9], off offset:1280
	;; [unrolled: 2-line block ×4, first 2 shown]
	ds_read_b128 v[2:5], v147 offset:17280
	ds_read_b128 v[6:9], v147 offset:19200
	ds_read_b128 v[10:13], v147 offset:21120
	ds_read_b128 v[14:17], v147 offset:23040
	v_add_co_u32 v18, vcc_lo, 0x4000, v22
	v_add_co_ci_u32_e32 v19, vcc_lo, 0, v23, vcc_lo
	v_add_co_u32 v20, vcc_lo, 0x4800, v22
	v_add_co_ci_u32_e32 v21, vcc_lo, 0, v23, vcc_lo
	;; [unrolled: 2-line block ×4, first 2 shown]
	s_waitcnt lgkmcnt(3)
	global_store_dwordx4 v[18:19], v[2:5], off offset:896
	s_waitcnt lgkmcnt(2)
	global_store_dwordx4 v[20:21], v[6:9], off offset:768
	;; [unrolled: 2-line block ×4, first 2 shown]
	ds_read_b128 v[2:5], v147 offset:24960
	ds_read_b128 v[6:9], v147 offset:26880
	ds_read_b128 v[10:13], v147 offset:28800
	ds_read_b128 v[14:17], v147 offset:30720
	v_add_co_u32 v18, vcc_lo, 0x6000, v22
	v_add_co_ci_u32_e32 v19, vcc_lo, 0, v23, vcc_lo
	v_add_co_u32 v20, vcc_lo, 0x6800, v22
	v_lshlrev_b64 v[24:25], 4, v[92:93]
	v_add_co_ci_u32_e32 v21, vcc_lo, 0, v23, vcc_lo
	v_add_co_u32 v26, vcc_lo, 0x7000, v22
	v_add_co_ci_u32_e32 v27, vcc_lo, 0, v23, vcc_lo
	v_add_co_u32 v24, vcc_lo, v0, v24
	v_add_co_ci_u32_e32 v25, vcc_lo, v1, v25, vcc_lo
	s_waitcnt lgkmcnt(3)
	global_store_dwordx4 v[18:19], v[2:5], off offset:384
	s_waitcnt lgkmcnt(2)
	global_store_dwordx4 v[20:21], v[6:9], off offset:256
	;; [unrolled: 2-line block ×3, first 2 shown]
	ds_read_b128 v[2:5], v147 offset:32640
	s_waitcnt lgkmcnt(1)
	global_store_dwordx4 v[24:25], v[14:17], off
	ds_read_b128 v[6:9], v147 offset:34560
	ds_read_b128 v[10:13], v147 offset:36480
	;; [unrolled: 1-line block ×3, first 2 shown]
	v_add_co_u32 v18, vcc_lo, 0x7800, v22
	v_add_co_ci_u32_e32 v19, vcc_lo, 0, v23, vcc_lo
	v_add_co_u32 v20, vcc_lo, 0x8000, v22
	v_add_co_ci_u32_e32 v21, vcc_lo, 0, v23, vcc_lo
	v_add_co_u32 v24, vcc_lo, 0x8800, v22
	v_add_co_ci_u32_e32 v25, vcc_lo, 0, v23, vcc_lo
	v_add_co_u32 v26, vcc_lo, 0x9000, v22
	v_add_co_ci_u32_e32 v27, vcc_lo, 0, v23, vcc_lo
	s_waitcnt lgkmcnt(3)
	global_store_dwordx4 v[18:19], v[2:5], off offset:1920
	s_waitcnt lgkmcnt(2)
	global_store_dwordx4 v[20:21], v[6:9], off offset:1792
	;; [unrolled: 2-line block ×4, first 2 shown]
	ds_read_b128 v[2:5], v147 offset:40320
	ds_read_b128 v[6:9], v147 offset:42240
	;; [unrolled: 1-line block ×5, first 2 shown]
	v_add_co_u32 v24, vcc_lo, 0x9800, v22
	v_add_co_ci_u32_e32 v25, vcc_lo, 0, v23, vcc_lo
	v_add_co_u32 v26, vcc_lo, 0xa000, v22
	v_add_co_ci_u32_e32 v27, vcc_lo, 0, v23, vcc_lo
	;; [unrolled: 2-line block ×5, first 2 shown]
	s_waitcnt lgkmcnt(4)
	global_store_dwordx4 v[24:25], v[2:5], off offset:1408
	s_waitcnt lgkmcnt(3)
	global_store_dwordx4 v[26:27], v[6:9], off offset:1280
	;; [unrolled: 2-line block ×5, first 2 shown]
	ds_read_b128 v[2:5], v147 offset:49920
	ds_read_b128 v[6:9], v147 offset:51840
	;; [unrolled: 1-line block ×4, first 2 shown]
	v_add_co_u32 v18, vcc_lo, 0xc000, v22
	v_add_co_ci_u32_e32 v19, vcc_lo, 0, v23, vcc_lo
	v_add_co_u32 v20, vcc_lo, 0xc800, v22
	v_add_co_ci_u32_e32 v21, vcc_lo, 0, v23, vcc_lo
	;; [unrolled: 2-line block ×4, first 2 shown]
	v_cmp_eq_u32_e32 vcc_lo, 0x77, v88
	s_waitcnt lgkmcnt(3)
	global_store_dwordx4 v[18:19], v[2:5], off offset:768
	s_waitcnt lgkmcnt(2)
	global_store_dwordx4 v[20:21], v[6:9], off offset:640
	;; [unrolled: 2-line block ×4, first 2 shown]
	s_and_b32 exec_lo, exec_lo, vcc_lo
	s_cbranch_execz .LBB0_20
; %bb.19:
	v_mov_b32_e32 v2, 0
	v_add_co_u32 v0, vcc_lo, 0xe000, v0
	v_add_co_ci_u32_e32 v1, vcc_lo, 0, v1, vcc_lo
	ds_read_b128 v[2:5], v2 offset:57600
	s_waitcnt lgkmcnt(0)
	global_store_dwordx4 v[0:1], v[2:5], off offset:256
.LBB0_20:
	s_endpgm
	.section	.rodata,"a",@progbits
	.p2align	6, 0x0
	.amdhsa_kernel fft_rtc_back_len3600_factors_10_10_6_6_wgs_120_tpt_120_halfLds_dp_ip_CI_unitstride_sbrr_R2C_dirReg
		.amdhsa_group_segment_fixed_size 0
		.amdhsa_private_segment_fixed_size 0
		.amdhsa_kernarg_size 88
		.amdhsa_user_sgpr_count 6
		.amdhsa_user_sgpr_private_segment_buffer 1
		.amdhsa_user_sgpr_dispatch_ptr 0
		.amdhsa_user_sgpr_queue_ptr 0
		.amdhsa_user_sgpr_kernarg_segment_ptr 1
		.amdhsa_user_sgpr_dispatch_id 0
		.amdhsa_user_sgpr_flat_scratch_init 0
		.amdhsa_user_sgpr_private_segment_size 0
		.amdhsa_wavefront_size32 1
		.amdhsa_uses_dynamic_stack 0
		.amdhsa_system_sgpr_private_segment_wavefront_offset 0
		.amdhsa_system_sgpr_workgroup_id_x 1
		.amdhsa_system_sgpr_workgroup_id_y 0
		.amdhsa_system_sgpr_workgroup_id_z 0
		.amdhsa_system_sgpr_workgroup_info 0
		.amdhsa_system_vgpr_workitem_id 0
		.amdhsa_next_free_vgpr 203
		.amdhsa_next_free_sgpr 21
		.amdhsa_reserve_vcc 1
		.amdhsa_reserve_flat_scratch 0
		.amdhsa_float_round_mode_32 0
		.amdhsa_float_round_mode_16_64 0
		.amdhsa_float_denorm_mode_32 3
		.amdhsa_float_denorm_mode_16_64 3
		.amdhsa_dx10_clamp 1
		.amdhsa_ieee_mode 1
		.amdhsa_fp16_overflow 0
		.amdhsa_workgroup_processor_mode 1
		.amdhsa_memory_ordered 1
		.amdhsa_forward_progress 0
		.amdhsa_shared_vgpr_count 0
		.amdhsa_exception_fp_ieee_invalid_op 0
		.amdhsa_exception_fp_denorm_src 0
		.amdhsa_exception_fp_ieee_div_zero 0
		.amdhsa_exception_fp_ieee_overflow 0
		.amdhsa_exception_fp_ieee_underflow 0
		.amdhsa_exception_fp_ieee_inexact 0
		.amdhsa_exception_int_div_zero 0
	.end_amdhsa_kernel
	.text
.Lfunc_end0:
	.size	fft_rtc_back_len3600_factors_10_10_6_6_wgs_120_tpt_120_halfLds_dp_ip_CI_unitstride_sbrr_R2C_dirReg, .Lfunc_end0-fft_rtc_back_len3600_factors_10_10_6_6_wgs_120_tpt_120_halfLds_dp_ip_CI_unitstride_sbrr_R2C_dirReg
                                        ; -- End function
	.section	.AMDGPU.csdata,"",@progbits
; Kernel info:
; codeLenInByte = 24596
; NumSgprs: 23
; NumVgprs: 203
; ScratchSize: 0
; MemoryBound: 0
; FloatMode: 240
; IeeeMode: 1
; LDSByteSize: 0 bytes/workgroup (compile time only)
; SGPRBlocks: 2
; VGPRBlocks: 25
; NumSGPRsForWavesPerEU: 23
; NumVGPRsForWavesPerEU: 203
; Occupancy: 4
; WaveLimiterHint : 1
; COMPUTE_PGM_RSRC2:SCRATCH_EN: 0
; COMPUTE_PGM_RSRC2:USER_SGPR: 6
; COMPUTE_PGM_RSRC2:TRAP_HANDLER: 0
; COMPUTE_PGM_RSRC2:TGID_X_EN: 1
; COMPUTE_PGM_RSRC2:TGID_Y_EN: 0
; COMPUTE_PGM_RSRC2:TGID_Z_EN: 0
; COMPUTE_PGM_RSRC2:TIDIG_COMP_CNT: 0
	.text
	.p2alignl 6, 3214868480
	.fill 48, 4, 3214868480
	.type	__hip_cuid_23c26ac3401c41f4,@object ; @__hip_cuid_23c26ac3401c41f4
	.section	.bss,"aw",@nobits
	.globl	__hip_cuid_23c26ac3401c41f4
__hip_cuid_23c26ac3401c41f4:
	.byte	0                               ; 0x0
	.size	__hip_cuid_23c26ac3401c41f4, 1

	.ident	"AMD clang version 19.0.0git (https://github.com/RadeonOpenCompute/llvm-project roc-6.4.0 25133 c7fe45cf4b819c5991fe208aaa96edf142730f1d)"
	.section	".note.GNU-stack","",@progbits
	.addrsig
	.addrsig_sym __hip_cuid_23c26ac3401c41f4
	.amdgpu_metadata
---
amdhsa.kernels:
  - .args:
      - .actual_access:  read_only
        .address_space:  global
        .offset:         0
        .size:           8
        .value_kind:     global_buffer
      - .offset:         8
        .size:           8
        .value_kind:     by_value
      - .actual_access:  read_only
        .address_space:  global
        .offset:         16
        .size:           8
        .value_kind:     global_buffer
      - .actual_access:  read_only
        .address_space:  global
        .offset:         24
        .size:           8
        .value_kind:     global_buffer
      - .offset:         32
        .size:           8
        .value_kind:     by_value
      - .actual_access:  read_only
        .address_space:  global
        .offset:         40
        .size:           8
        .value_kind:     global_buffer
      - .actual_access:  read_only
        .address_space:  global
        .offset:         48
        .size:           8
        .value_kind:     global_buffer
      - .offset:         56
        .size:           4
        .value_kind:     by_value
      - .actual_access:  read_only
        .address_space:  global
        .offset:         64
        .size:           8
        .value_kind:     global_buffer
      - .actual_access:  read_only
        .address_space:  global
        .offset:         72
        .size:           8
        .value_kind:     global_buffer
      - .address_space:  global
        .offset:         80
        .size:           8
        .value_kind:     global_buffer
    .group_segment_fixed_size: 0
    .kernarg_segment_align: 8
    .kernarg_segment_size: 88
    .language:       OpenCL C
    .language_version:
      - 2
      - 0
    .max_flat_workgroup_size: 120
    .name:           fft_rtc_back_len3600_factors_10_10_6_6_wgs_120_tpt_120_halfLds_dp_ip_CI_unitstride_sbrr_R2C_dirReg
    .private_segment_fixed_size: 0
    .sgpr_count:     23
    .sgpr_spill_count: 0
    .symbol:         fft_rtc_back_len3600_factors_10_10_6_6_wgs_120_tpt_120_halfLds_dp_ip_CI_unitstride_sbrr_R2C_dirReg.kd
    .uniform_work_group_size: 1
    .uses_dynamic_stack: false
    .vgpr_count:     203
    .vgpr_spill_count: 0
    .wavefront_size: 32
    .workgroup_processor_mode: 1
amdhsa.target:   amdgcn-amd-amdhsa--gfx1030
amdhsa.version:
  - 1
  - 2
...

	.end_amdgpu_metadata
